;; amdgpu-corpus repo=ROCm/rocFFT kind=compiled arch=gfx950 opt=O3
	.text
	.amdgcn_target "amdgcn-amd-amdhsa--gfx950"
	.amdhsa_code_object_version 6
	.protected	bluestein_single_fwd_len1248_dim1_dp_op_CI_CI ; -- Begin function bluestein_single_fwd_len1248_dim1_dp_op_CI_CI
	.globl	bluestein_single_fwd_len1248_dim1_dp_op_CI_CI
	.p2align	8
	.type	bluestein_single_fwd_len1248_dim1_dp_op_CI_CI,@function
bluestein_single_fwd_len1248_dim1_dp_op_CI_CI: ; @bluestein_single_fwd_len1248_dim1_dp_op_CI_CI
; %bb.0:
	s_load_dwordx4 s[12:15], s[0:1], 0x28
	v_mul_u32_u24_e32 v1, 0x4ed, v0
	v_mov_b32_e32 v161, 0
	v_add_u32_sdwa v6, s2, v1 dst_sel:DWORD dst_unused:UNUSED_PAD src0_sel:DWORD src1_sel:WORD_1
	v_mov_b32_e32 v7, v161
	s_waitcnt lgkmcnt(0)
	v_cmp_gt_u64_e32 vcc, s[12:13], v[6:7]
	s_and_saveexec_b64 s[2:3], vcc
	s_cbranch_execz .LBB0_10
; %bb.1:
	s_load_dwordx4 s[4:7], s[0:1], 0x18
	s_load_dwordx4 s[8:11], s[0:1], 0x0
	v_mov_b32_e32 v2, s14
	v_mov_b32_e32 v3, s15
	;; [unrolled: 1-line block ×3, first 2 shown]
	s_waitcnt lgkmcnt(0)
	s_load_dwordx4 s[12:15], s[4:5], 0x0
	v_mul_lo_u16_sdwa v1, v1, v4 dst_sel:DWORD dst_unused:UNUSED_PAD src0_sel:WORD_1 src1_sel:DWORD
	v_sub_u16_e32 v160, v0, v1
	v_accvgpr_write_b32 a30, v6
	v_mov_b32_e32 v36, 0x2700
	s_waitcnt lgkmcnt(0)
	v_mad_u64_u32 v[0:1], s[2:3], s14, v6, 0
	v_mov_b32_e32 v4, v1
	v_mad_u64_u32 v[4:5], s[2:3], s15, v6, v[4:5]
	v_mov_b32_e32 v1, v4
	v_mad_u64_u32 v[4:5], s[2:3], s12, v160, 0
	v_mov_b32_e32 v6, v5
	v_mad_u64_u32 v[6:7], s[2:3], s13, v160, v[6:7]
	v_mov_b32_e32 v5, v6
	v_lshl_add_u64 v[12:13], v[0:1], 4, v[2:3]
	v_lshl_add_u64 v[4:5], v[4:5], 4, v[12:13]
	v_lshlrev_b32_e32 v248, 4, v160
	v_mov_b32_e32 v249, v161
	v_mad_u64_u32 v[8:9], s[2:3], s12, v36, v[4:5]
	v_lshl_add_u64 v[30:31], s[8:9], 0, v[248:249]
	s_movk_i32 s3, 0x2000
	s_mul_i32 s2, s13, 0x2700
	v_add_co_u32_e32 v28, vcc, s3, v30
	global_load_dwordx4 v[0:3], v[4:5], off
	global_load_dwordx4 v[70:73], v248, s[8:9]
	v_add_u32_e32 v9, s2, v9
	v_addc_co_u32_e32 v29, vcc, 0, v31, vcc
	v_mov_b32_e32 v37, 0xffffdc40
	s_mul_i32 s3, s13, 0xffffdc40
	global_load_dwordx4 v[58:61], v[28:29], off offset:1792
	global_load_dwordx4 v[4:7], v[8:9], off
	v_mad_u64_u32 v[14:15], s[4:5], s12, v37, v[8:9]
	s_sub_i32 s3, s3, s12
	v_add_u32_e32 v15, s3, v15
	global_load_dwordx4 v[8:11], v[14:15], off
	global_load_dwordx4 v[82:85], v248, s[8:9] offset:832
	v_mad_u64_u32 v[14:15], s[4:5], s12, v36, v[14:15]
	v_add_u32_e32 v15, s2, v15
	global_load_dwordx4 v[90:93], v[28:29], off offset:2624
	global_load_dwordx4 v[20:23], v[14:15], off
	v_mad_u64_u32 v[14:15], s[4:5], s12, v37, v[14:15]
	v_add_u32_e32 v15, s3, v15
	global_load_dwordx4 v[24:27], v[14:15], off
	global_load_dwordx4 v[74:77], v248, s[8:9] offset:1664
	v_mad_u64_u32 v[14:15], s[4:5], s12, v36, v[14:15]
	v_add_u32_e32 v15, s2, v15
	global_load_dwordx4 v[38:41], v[14:15], off
	global_load_dwordx4 v[62:65], v[28:29], off offset:3456
	v_mad_u64_u32 v[14:15], s[4:5], s12, v37, v[14:15]
	v_add_u32_e32 v15, s3, v15
	global_load_dwordx4 v[42:45], v[14:15], off
	global_load_dwordx4 v[78:81], v248, s[8:9] offset:2496
	v_mad_u64_u32 v[14:15], s[4:5], s12, v36, v[14:15]
	s_movk_i32 s4, 0x3000
	s_nop 0
	v_add_co_u32_e32 v32, vcc, s4, v30
	v_add_u32_e32 v15, s2, v15
	s_nop 0
	v_addc_co_u32_e32 v33, vcc, 0, v31, vcc
	global_load_dwordx4 v[46:49], v[14:15], off
	global_load_dwordx4 v[86:89], v[32:33], off offset:192
	v_mad_u64_u32 v[34:35], s[4:5], s12, v37, v[14:15]
	v_add_u32_e32 v35, s3, v35
	v_or_b32_e32 v18, 0x340, v160
	global_load_dwordx4 v[50:53], v[34:35], off
	global_load_dwordx4 v[54:57], v248, s[8:9] offset:3328
	v_mad_u64_u32 v[14:15], s[4:5], s12, v18, 0
	v_mov_b32_e32 v16, v15
	v_mad_u64_u32 v[16:17], s[4:5], s13, v18, v[16:17]
	v_mov_b32_e32 v15, v16
	v_lshl_add_u64 v[12:13], v[14:15], 4, v[12:13]
	v_lshlrev_b32_e32 v14, 4, v18
	v_accvgpr_write_b32 a1, v18
	v_accvgpr_write_b32 a250, v14
	global_load_dwordx4 v[66:69], v14, s[8:9]
	global_load_dwordx4 v[16:19], v[12:13], off
	s_mov_b64 s[14:15], 0x68
	v_lshl_add_u64 v[118:119], v[160:161], 0, s[14:15]
	s_mulk_i32 s13, 0x340
	s_load_dwordx4 s[4:7], s[6:7], 0x0
	v_lshl_add_u64 v[122:123], v[160:161], 0, 52
	v_and_b32_e32 v138, 1, v160
	v_accvgpr_write_b32 a128, v118
	v_lshlrev_b32_e32 v140, 1, v118
	v_accvgpr_write_b32 a100, v122
	v_lshlrev_b32_e32 v139, 1, v122
	v_lshlrev_b32_e32 v151, 1, v160
	v_accvgpr_write_b32 a135, v151
	s_waitcnt vmcnt(18)
	v_mul_f64 v[12:13], v[2:3], v[72:73]
	v_mul_f64 v[14:15], v[0:1], v[72:73]
	v_fmac_f64_e32 v[12:13], v[0:1], v[70:71]
	v_fma_f64 v[14:15], v[2:3], v[70:71], -v[14:15]
	ds_write_b128 v248, v[12:15]
	v_accvgpr_write_b32 a18, v70
	v_accvgpr_write_b32 a19, v71
	s_waitcnt vmcnt(16)
	v_mul_f64 v[0:1], v[6:7], v[60:61]
	v_mul_f64 v[2:3], v[4:5], v[60:61]
	v_fmac_f64_e32 v[0:1], v[4:5], v[58:59]
	v_fma_f64 v[2:3], v[6:7], v[58:59], -v[2:3]
	ds_write_b128 v248, v[0:3] offset:9984
	s_waitcnt vmcnt(14)
	v_mul_f64 v[0:1], v[10:11], v[84:85]
	v_mul_f64 v[2:3], v[8:9], v[84:85]
	v_fmac_f64_e32 v[0:1], v[8:9], v[82:83]
	v_fma_f64 v[2:3], v[10:11], v[82:83], -v[2:3]
	ds_write_b128 v248, v[0:3] offset:832
	;; [unrolled: 6-line block ×5, first 2 shown]
	v_mov_b32_e32 v0, 0x340
	v_mad_u64_u32 v[12:13], s[14:15], s12, v0, v[34:35]
	v_add_u32_e32 v13, s13, v13
	s_movk_i32 s13, 0x1000
	v_add_co_u32_e32 v34, vcc, s13, v30
	v_accvgpr_write_b32 a40, v90
	s_nop 0
	v_addc_co_u32_e32 v35, vcc, 0, v31, vcc
	v_accvgpr_write_b32 a41, v91
	v_accvgpr_write_b32 a42, v92
	;; [unrolled: 1-line block ×3, first 2 shown]
	global_load_dwordx4 v[4:7], v[12:13], off
	global_load_dwordx4 v[90:93], v[34:35], off offset:64
	s_waitcnt vmcnt(8)
	v_mul_f64 v[0:1], v[44:45], v[80:81]
	v_mul_f64 v[2:3], v[42:43], v[80:81]
	s_mov_b64 s[14:15], 0x9c
	v_fmac_f64_e32 v[0:1], v[42:43], v[78:79]
	v_fma_f64 v[2:3], v[44:45], v[78:79], -v[2:3]
	v_lshl_add_u64 v[120:121], v[160:161], 0, s[14:15]
	ds_write_b128 v248, v[0:3] offset:2496
	s_waitcnt vmcnt(6)
	v_mul_f64 v[0:1], v[48:49], v[88:89]
	v_mul_f64 v[2:3], v[46:47], v[88:89]
	s_mov_b64 s[14:15], 0xd0
	v_fmac_f64_e32 v[0:1], v[46:47], v[86:87]
	v_fma_f64 v[2:3], v[48:49], v[86:87], -v[2:3]
	v_lshl_add_u64 v[114:115], v[160:161], 0, s[14:15]
	v_mad_u64_u32 v[12:13], s[14:15], s12, v36, v[12:13]
	ds_write_b128 v248, v[0:3] offset:12480
	s_waitcnt vmcnt(4)
	v_mul_f64 v[8:9], v[52:53], v[56:57]
	v_mul_f64 v[0:1], v[50:51], v[56:57]
	v_add_u32_e32 v13, s2, v13
	v_fmac_f64_e32 v[8:9], v[50:51], v[54:55]
	v_fma_f64 v[10:11], v[52:53], v[54:55], -v[0:1]
	global_load_dwordx4 v[0:3], v[12:13], off
	global_load_dwordx4 v[110:113], v[32:33], off offset:1856
	v_mad_u64_u32 v[12:13], s[14:15], s12, v37, v[12:13]
	v_accvgpr_write_b32 a32, v82
	ds_write_b128 v248, v[8:11] offset:3328
	v_add_u32_e32 v13, s3, v13
	v_accvgpr_write_b32 a33, v83
	v_accvgpr_write_b32 a34, v84
	;; [unrolled: 1-line block ×3, first 2 shown]
	global_load_dwordx4 v[8:11], v[12:13], off
	global_load_dwordx4 v[82:85], v[34:35], off offset:896
	v_mad_u64_u32 v[20:21], s[14:15], s12, v36, v[12:13]
	v_add_u32_e32 v21, s2, v21
	v_accvgpr_write_b32 a20, v72
	v_accvgpr_write_b32 a21, v73
	global_load_dwordx4 v[12:15], v[20:21], off
	global_load_dwordx4 v[70:73], v[32:33], off offset:2688
	v_mad_u64_u32 v[24:25], s[14:15], s12, v37, v[20:21]
	v_accvgpr_write_b32 a36, v86
	v_add_u32_e32 v25, s3, v25
	v_accvgpr_write_b32 a37, v87
	v_accvgpr_write_b32 a38, v88
	;; [unrolled: 1-line block ×3, first 2 shown]
	global_load_dwordx4 v[20:23], v[24:25], off
	global_load_dwordx4 v[86:89], v[34:35], off offset:1728
	v_mad_u64_u32 v[40:41], s[14:15], s12, v36, v[24:25]
	v_add_u32_e32 v41, s2, v41
	global_load_dwordx4 v[24:27], v[40:41], off
	global_load_dwordx4 v[98:101], v[32:33], off offset:3520
	v_mad_u64_u32 v[32:33], s[14:15], s12, v37, v[40:41]
	v_accvgpr_write_b32 a6, v58
	v_accvgpr_write_b32 a22, v74
	v_add_u32_e32 v33, s3, v33
	s_movk_i32 s13, 0x4000
	v_accvgpr_write_b32 a7, v59
	v_accvgpr_write_b32 a8, v60
	;; [unrolled: 1-line block ×6, first 2 shown]
	s_waitcnt vmcnt(12)
	v_mul_f64 v[38:39], v[18:19], v[68:69]
	global_load_dwordx4 v[42:45], v[32:33], off
	global_load_dwordx4 v[74:77], v[34:35], off offset:2560
	v_mad_u64_u32 v[32:33], s[14:15], s12, v36, v[32:33]
	v_add_co_u32_e32 v58, vcc, s13, v30
	v_accvgpr_write_b32 a26, v78
	v_fmac_f64_e32 v[38:39], v[16:17], v[66:67]
	v_mul_f64 v[16:17], v[16:17], v[68:69]
	v_add_u32_e32 v33, s2, v33
	v_addc_co_u32_e32 v59, vcc, 0, v31, vcc
	v_accvgpr_write_b32 a27, v79
	v_accvgpr_write_b32 a28, v80
	;; [unrolled: 1-line block ×3, first 2 shown]
	global_load_dwordx4 v[46:49], v[32:33], off
	global_load_dwordx4 v[78:81], v[58:59], off offset:256
	v_fma_f64 v[40:41], v[18:19], v[66:67], -v[16:17]
	v_mad_u64_u32 v[30:31], s[14:15], s12, v37, v[32:33]
	ds_write_b128 v248, v[38:41] offset:13312
	v_add_u32_e32 v31, s3, v31
	global_load_dwordx4 v[16:19], v[30:31], off
	global_load_dwordx4 v[94:97], v[34:35], off offset:3392
	v_mad_u64_u32 v[34:35], s[14:15], s12, v36, v[30:31]
	v_add_u32_e32 v35, s2, v35
	s_mov_b64 s[14:15], 0x104
	global_load_dwordx4 v[30:33], v[34:35], off
	global_load_dwordx4 v[106:109], v[58:59], off offset:1088
	v_lshl_add_u64 v[116:117], v[160:161], 0, s[14:15]
	v_mad_u64_u32 v[34:35], s[14:15], s12, v37, v[34:35]
	v_accvgpr_write_b32 a10, v62
	v_accvgpr_write_b32 a14, v66
	v_add_u32_e32 v35, s3, v35
	v_accvgpr_write_b32 a11, v63
	v_accvgpr_write_b32 a12, v64
	;; [unrolled: 1-line block ×6, first 2 shown]
	global_load_dwordx4 v[50:53], v[34:35], off
	global_load_dwordx4 v[64:67], v[28:29], off offset:128
	v_mad_u64_u32 v[34:35], s[14:15], s12, v36, v[34:35]
	v_accvgpr_write_b32 a2, v54
	v_add_u32_e32 v35, s2, v35
	v_accvgpr_write_b32 a3, v55
	v_accvgpr_write_b32 a4, v56
	;; [unrolled: 1-line block ×3, first 2 shown]
	s_waitcnt vmcnt(20)
	v_mul_f64 v[38:39], v[6:7], v[92:93]
	global_load_dwordx4 v[54:57], v[34:35], off
	global_load_dwordx4 v[60:63], v[58:59], off offset:1920
	v_mad_u64_u32 v[34:35], s[14:15], s12, v37, v[34:35]
	v_fmac_f64_e32 v[38:39], v[4:5], v[90:91]
	v_mul_f64 v[4:5], v[4:5], v[92:93]
	v_accvgpr_write_b32 a68, v90
	v_add_u32_e32 v35, s3, v35
	v_accvgpr_write_b32 a69, v91
	v_accvgpr_write_b32 a70, v92
	;; [unrolled: 1-line block ×3, first 2 shown]
	v_fma_f64 v[40:41], v[6:7], v[90:91], -v[4:5]
	global_load_dwordx4 v[4:7], v[34:35], off
	global_load_dwordx4 v[90:93], v[28:29], off offset:960
	v_mad_u64_u32 v[28:29], s[12:13], s12, v36, v[34:35]
	v_add_u32_e32 v29, s2, v29
	global_load_dwordx4 v[34:37], v[28:29], off
	global_load_dwordx4 v[102:105], v[58:59], off offset:2752
	ds_write_b128 v248, v[38:41] offset:4160
	s_waitcnt vmcnt(24)
	v_mul_f64 v[38:39], v[2:3], v[112:113]
	v_fmac_f64_e32 v[38:39], v[0:1], v[110:111]
	v_mul_f64 v[0:1], v[0:1], v[112:113]
	v_fma_f64 v[40:41], v[2:3], v[110:111], -v[0:1]
	s_waitcnt vmcnt(22)
	v_mul_f64 v[0:1], v[10:11], v[84:85]
	v_mul_f64 v[2:3], v[8:9], v[84:85]
	v_fmac_f64_e32 v[0:1], v[8:9], v[82:83]
	v_fma_f64 v[2:3], v[10:11], v[82:83], -v[2:3]
	ds_write_b128 v248, v[0:3] offset:4992
	s_waitcnt vmcnt(20)
	v_mul_f64 v[0:1], v[14:15], v[72:73]
	v_mul_f64 v[2:3], v[12:13], v[72:73]
	v_fmac_f64_e32 v[0:1], v[12:13], v[70:71]
	v_fma_f64 v[2:3], v[14:15], v[70:71], -v[2:3]
	ds_write_b128 v248, v[0:3] offset:14976
	;; [unrolled: 6-line block ×5, first 2 shown]
	v_accvgpr_write_b32 a64, v82
	s_waitcnt vmcnt(12)
	v_mul_f64 v[0:1], v[48:49], v[80:81]
	v_mul_f64 v[2:3], v[46:47], v[80:81]
	v_fmac_f64_e32 v[0:1], v[46:47], v[78:79]
	v_fma_f64 v[2:3], v[48:49], v[78:79], -v[2:3]
	ds_write_b128 v248, v[0:3] offset:16640
	v_accvgpr_write_b32 a48, v70
	s_waitcnt vmcnt(10)
	v_mul_f64 v[0:1], v[18:19], v[96:97]
	v_mul_f64 v[2:3], v[16:17], v[96:97]
	v_fmac_f64_e32 v[0:1], v[16:17], v[94:95]
	v_fma_f64 v[2:3], v[18:19], v[94:95], -v[2:3]
	ds_write_b128 v248, v[0:3] offset:7488
	s_waitcnt vmcnt(8)
	v_mul_f64 v[0:1], v[32:33], v[108:109]
	v_mul_f64 v[2:3], v[30:31], v[108:109]
	v_fmac_f64_e32 v[0:1], v[30:31], v[106:107]
	v_fma_f64 v[2:3], v[32:33], v[106:107], -v[2:3]
	ds_write_b128 v248, v[0:3] offset:17472
	v_accvgpr_write_b32 a72, v86
	v_accvgpr_write_b32 a52, v74
	;; [unrolled: 1-line block ×4, first 2 shown]
	ds_write_b128 v248, v[38:41] offset:14144
	v_accvgpr_write_b32 a65, v83
	v_accvgpr_write_b32 a66, v84
	;; [unrolled: 1-line block ×3, first 2 shown]
	s_waitcnt vmcnt(6)
	v_mul_f64 v[0:1], v[52:53], v[66:67]
	v_mul_f64 v[2:3], v[50:51], v[66:67]
	v_fmac_f64_e32 v[0:1], v[50:51], v[64:65]
	v_fma_f64 v[2:3], v[52:53], v[64:65], -v[2:3]
	ds_write_b128 v248, v[0:3] offset:8320
	v_accvgpr_write_b32 a60, v64
	v_accvgpr_write_b32 a49, v71
	;; [unrolled: 1-line block ×4, first 2 shown]
	s_waitcnt vmcnt(4)
	v_mul_f64 v[0:1], v[56:57], v[62:63]
	v_mul_f64 v[2:3], v[54:55], v[62:63]
	v_fmac_f64_e32 v[0:1], v[54:55], v[60:61]
	v_fma_f64 v[2:3], v[56:57], v[60:61], -v[2:3]
	ds_write_b128 v248, v[0:3] offset:18304
	v_accvgpr_write_b32 a44, v60
	v_accvgpr_write_b32 a73, v87
	;; [unrolled: 1-line block ×6, first 2 shown]
	s_waitcnt vmcnt(2)
	v_mul_f64 v[0:1], v[6:7], v[92:93]
	v_mul_f64 v[2:3], v[4:5], v[92:93]
	v_fmac_f64_e32 v[0:1], v[4:5], v[90:91]
	v_fma_f64 v[2:3], v[6:7], v[90:91], -v[2:3]
	ds_write_b128 v248, v[0:3] offset:9152
	s_waitcnt vmcnt(0)
	v_mul_f64 v[0:1], v[36:37], v[104:105]
	v_mul_f64 v[2:3], v[34:35], v[104:105]
	v_accvgpr_write_b32 a76, v90
	v_fmac_f64_e32 v[0:1], v[34:35], v[102:103]
	v_fma_f64 v[2:3], v[36:37], v[102:103], -v[2:3]
	v_accvgpr_write_b32 a55, v77
	v_accvgpr_write_b32 a57, v79
	;; [unrolled: 1-line block ×16, first 2 shown]
	ds_write_b128 v248, v[0:3] offset:19136
	s_waitcnt lgkmcnt(0)
	; wave barrier
	s_waitcnt lgkmcnt(0)
	ds_read_b128 v[0:3], v248
	ds_read_b128 v[4:7], v248 offset:832
	ds_read_b128 v[8:11], v248 offset:9984
	;; [unrolled: 1-line block ×23, first 2 shown]
	s_waitcnt lgkmcnt(14)
	v_add_f64 v[8:9], v[0:1], -v[8:9]
	v_add_f64 v[10:11], v[2:3], -v[10:11]
	v_fma_f64 v[0:1], v[0:1], 2.0, -v[8:9]
	v_fma_f64 v[2:3], v[2:3], 2.0, -v[10:11]
	v_add_f64 v[12:13], v[4:5], -v[12:13]
	v_add_f64 v[14:15], v[6:7], -v[14:15]
	v_lshlrev_b32_e32 v96, 5, v160
	v_fma_f64 v[4:5], v[4:5], 2.0, -v[12:13]
	v_fma_f64 v[6:7], v[6:7], 2.0, -v[14:15]
	v_add_f64 v[24:25], v[16:17], -v[24:25]
	v_add_f64 v[26:27], v[18:19], -v[26:27]
	s_waitcnt lgkmcnt(0)
	; wave barrier
	s_waitcnt lgkmcnt(0)
	ds_write_b128 v96, v[0:3]
	v_lshlrev_b32_e32 v0, 5, v122
	v_fma_f64 v[16:17], v[16:17], 2.0, -v[24:25]
	v_fma_f64 v[18:19], v[18:19], 2.0, -v[26:27]
	v_add_f64 v[28:29], v[20:21], -v[28:29]
	v_add_f64 v[30:31], v[22:23], -v[30:31]
	ds_write_b128 v96, v[8:11] offset:16
	ds_write_b128 v0, v[4:7]
	v_accvgpr_write_b32 a133, v0
	ds_write_b128 v0, v[12:15] offset:16
	v_lshlrev_b32_e32 v0, 5, v118
	v_fma_f64 v[20:21], v[20:21], 2.0, -v[28:29]
	v_fma_f64 v[22:23], v[22:23], 2.0, -v[30:31]
	v_add_f64 v[40:41], v[32:33], -v[40:41]
	v_add_f64 v[42:43], v[34:35], -v[42:43]
	ds_write_b128 v0, v[16:19]
	v_accvgpr_write_b32 a132, v0
	ds_write_b128 v0, v[24:27] offset:16
	v_lshlrev_b32_e32 v0, 5, v120
	v_accvgpr_write_b32 a96, v110
	s_mov_b64 s[2:3], 0x138
	v_fma_f64 v[32:33], v[32:33], 2.0, -v[40:41]
	v_fma_f64 v[34:35], v[34:35], 2.0, -v[42:43]
	v_add_f64 v[44:45], v[36:37], -v[44:45]
	v_add_f64 v[46:47], v[38:39], -v[46:47]
	ds_write_b128 v0, v[20:23]
	v_accvgpr_write_b32 a131, v0
	ds_write_b128 v0, v[28:31] offset:16
	v_lshlrev_b32_e32 v0, 5, v114
	v_accvgpr_write_b32 a97, v111
	v_accvgpr_write_b32 a98, v112
	;; [unrolled: 1-line block ×3, first 2 shown]
	v_lshl_add_u64 v[112:113], v[160:161], 0, s[2:3]
	s_mov_b64 s[2:3], 0x16c
	v_fma_f64 v[36:37], v[36:37], 2.0, -v[44:45]
	v_fma_f64 v[38:39], v[38:39], 2.0, -v[46:47]
	v_add_f64 v[56:57], v[48:49], -v[56:57]
	v_add_f64 v[58:59], v[50:51], -v[58:59]
	ds_write_b128 v0, v[32:35]
	v_accvgpr_write_b32 a130, v0
	ds_write_b128 v0, v[40:43] offset:16
	v_lshlrev_b32_e32 v0, 5, v116
	v_lshl_add_u64 v[110:111], v[160:161], 0, s[2:3]
	v_accvgpr_write_b32 a84, v98
	s_mov_b64 s[2:3], 0x1a0
	v_fma_f64 v[48:49], v[48:49], 2.0, -v[56:57]
	v_fma_f64 v[50:51], v[50:51], 2.0, -v[58:59]
	v_add_f64 v[60:61], v[52:53], -v[60:61]
	v_add_f64 v[62:63], v[54:55], -v[62:63]
	ds_write_b128 v0, v[36:39]
	v_accvgpr_write_b32 a129, v0
	ds_write_b128 v0, v[44:47] offset:16
	v_lshlrev_b32_e32 v0, 5, v112
	v_accvgpr_write_b32 a85, v99
	v_accvgpr_write_b32 a86, v100
	;; [unrolled: 1-line block ×3, first 2 shown]
	v_lshl_add_u64 v[98:99], v[160:161], 0, s[2:3]
	s_mov_b64 s[2:3], 0x1d4
	v_fma_f64 v[52:53], v[52:53], 2.0, -v[60:61]
	v_fma_f64 v[54:55], v[54:55], 2.0, -v[62:63]
	v_add_f64 v[72:73], v[64:65], -v[72:73]
	v_add_f64 v[74:75], v[66:67], -v[74:75]
	ds_write_b128 v0, v[48:51]
	v_accvgpr_write_b32 a127, v0
	ds_write_b128 v0, v[56:59] offset:16
	v_lshlrev_b32_e32 v0, 5, v110
	v_lshl_add_u64 v[156:157], v[160:161], 0, s[2:3]
	s_mov_b64 s[2:3], 0x208
	v_fma_f64 v[64:65], v[64:65], 2.0, -v[72:73]
	v_fma_f64 v[66:67], v[66:67], 2.0, -v[74:75]
	v_add_f64 v[76:77], v[68:69], -v[76:77]
	v_add_f64 v[78:79], v[70:71], -v[78:79]
	ds_write_b128 v0, v[52:55]
	v_accvgpr_write_b32 a121, v0
	ds_write_b128 v0, v[60:63] offset:16
	v_lshlrev_b32_e32 v0, 5, v98
	v_lshl_add_u64 v[154:155], v[160:161], 0, s[2:3]
	s_mov_b64 s[2:3], 0x23c
	v_fma_f64 v[68:69], v[68:69], 2.0, -v[76:77]
	v_fma_f64 v[70:71], v[70:71], 2.0, -v[78:79]
	v_add_f64 v[88:89], v[80:81], -v[88:89]
	v_add_f64 v[90:91], v[82:83], -v[90:91]
	ds_write_b128 v0, v[64:67]
	v_accvgpr_write_b32 a123, v0
	ds_write_b128 v0, v[72:75] offset:16
	v_lshlrev_b32_e32 v0, 5, v156
	v_lshl_add_u64 v[152:153], v[160:161], 0, s[2:3]
	v_fma_f64 v[80:81], v[80:81], 2.0, -v[88:89]
	v_fma_f64 v[82:83], v[82:83], 2.0, -v[90:91]
	v_add_f64 v[92:93], v[84:85], -v[92:93]
	v_add_f64 v[94:95], v[86:87], -v[94:95]
	ds_write_b128 v0, v[68:71]
	v_accvgpr_write_b32 a124, v0
	ds_write_b128 v0, v[76:79] offset:16
	v_lshlrev_b32_e32 v0, 5, v154
	v_fma_f64 v[84:85], v[84:85], 2.0, -v[92:93]
	v_fma_f64 v[86:87], v[86:87], 2.0, -v[94:95]
	ds_write_b128 v0, v[80:83]
	v_accvgpr_write_b32 a125, v0
	ds_write_b128 v0, v[88:91] offset:16
	v_lshlrev_b32_e32 v0, 5, v152
	ds_write_b128 v0, v[84:87]
	v_accvgpr_write_b32 a126, v0
	ds_write_b128 v0, v[92:95] offset:16
	v_lshlrev_b32_e32 v0, 4, v138
	s_waitcnt lgkmcnt(0)
	; wave barrier
	s_waitcnt lgkmcnt(0)
	global_load_dwordx4 v[144:147], v0, s[10:11]
	v_accvgpr_write_b32 a134, v96
	ds_read_b128 v[0:3], v248
	ds_read_b128 v[4:7], v248 offset:832
	ds_read_b128 v[8:11], v248 offset:9984
	;; [unrolled: 1-line block ×23, first 2 shown]
	v_accvgpr_write_b32 a148, v98
	v_lshlrev_b32_e32 v150, 1, v98
	v_accvgpr_write_b32 a136, v120
	v_lshlrev_b32_e32 v141, 1, v120
	s_load_dwordx2 s[2:3], s[0:1], 0x38
	s_movk_i32 s0, 0x7c
	v_accvgpr_write_b32 a118, v116
	v_lshlrev_b32_e32 v143, 1, v116
	s_waitcnt lgkmcnt(0)
	; wave barrier
	s_waitcnt lgkmcnt(0)
	v_accvgpr_write_b32 a88, v102
	v_lshlrev_b32_e32 v142, 1, v114
	v_accvgpr_write_b32 a92, v106
	v_accvgpr_write_b32 a89, v103
	;; [unrolled: 1-line block ×7, first 2 shown]
	s_movk_i32 s1, 0x2fc
	v_accvgpr_write_b32 a120, v110
	v_lshlrev_b32_e32 v149, 1, v110
	v_accvgpr_write_b32 a116, v114
	v_accvgpr_write_b32 a122, v112
	v_lshlrev_b32_e32 v148, 1, v112
	v_accvgpr_write_b32 a142, v156
	v_accvgpr_write_b32 a140, v154
	;; [unrolled: 1-line block ×3, first 2 shown]
	v_cmp_gt_u16_e32 vcc, 44, v160
	s_waitcnt vmcnt(0)
	v_mul_f64 v[96:97], v[10:11], v[146:147]
	v_fma_f64 v[96:97], v[8:9], v[144:145], -v[96:97]
	v_mul_f64 v[98:99], v[8:9], v[146:147]
	v_mul_f64 v[8:9], v[14:15], v[146:147]
	v_fma_f64 v[100:101], v[12:13], v[144:145], -v[8:9]
	v_mul_f64 v[12:13], v[12:13], v[146:147]
	v_mul_f64 v[8:9], v[26:27], v[146:147]
	v_fmac_f64_e32 v[12:13], v[14:15], v[144:145]
	v_fma_f64 v[14:15], v[24:25], v[144:145], -v[8:9]
	v_mul_f64 v[24:25], v[24:25], v[146:147]
	v_mul_f64 v[8:9], v[30:31], v[146:147]
	v_fmac_f64_e32 v[24:25], v[26:27], v[144:145]
	;; [unrolled: 4-line block ×5, first 2 shown]
	v_fma_f64 v[46:47], v[56:57], v[144:145], -v[8:9]
	v_mul_f64 v[8:9], v[62:63], v[146:147]
	v_fma_f64 v[118:119], v[60:61], v[144:145], -v[8:9]
	v_mul_f64 v[120:121], v[60:61], v[146:147]
	v_mul_f64 v[8:9], v[74:75], v[146:147]
	v_fmac_f64_e32 v[120:121], v[62:63], v[144:145]
	v_fma_f64 v[122:123], v[72:73], v[144:145], -v[8:9]
	v_mul_f64 v[8:9], v[78:79], v[146:147]
	v_mul_f64 v[124:125], v[72:73], v[146:147]
	v_fma_f64 v[126:127], v[76:77], v[144:145], -v[8:9]
	v_mul_f64 v[128:129], v[76:77], v[146:147]
	v_mul_f64 v[8:9], v[90:91], v[146:147]
	v_add_f64 v[62:63], v[6:7], -v[12:13]
	v_add_f64 v[76:77], v[16:17], -v[14:15]
	;; [unrolled: 1-line block ×3, first 2 shown]
	v_fmac_f64_e32 v[98:99], v[10:11], v[144:145]
	v_fmac_f64_e32 v[124:125], v[74:75], v[144:145]
	v_fma_f64 v[130:131], v[88:89], v[144:145], -v[8:9]
	v_mul_f64 v[8:9], v[94:95], v[146:147]
	v_fma_f64 v[74:75], v[6:7], 2.0, -v[62:63]
	v_fma_f64 v[6:7], v[54:55], 2.0, -v[14:15]
	v_and_or_b32 v55, v151, s0, v138
	v_fma_f64 v[134:135], v[92:93], v[144:145], -v[8:9]
	v_add_f64 v[8:9], v[0:1], -v[96:97]
	v_add_f64 v[10:11], v[2:3], -v[98:99]
	v_lshlrev_b32_e32 v55, 4, v55
	s_movk_i32 s0, 0xfc
	v_mul_f64 v[116:117], v[56:57], v[146:147]
	v_fma_f64 v[56:57], v[0:1], 2.0, -v[8:9]
	v_add_f64 v[60:61], v[4:5], -v[100:101]
	ds_write_b128 v55, v[8:11] offset:32
	v_and_or_b32 v8, v139, s0, v138
	v_fmac_f64_e32 v[116:117], v[58:59], v[144:145]
	v_fma_f64 v[58:59], v[2:3], 2.0, -v[10:11]
	v_fma_f64 v[72:73], v[4:5], 2.0, -v[60:61]
	v_lshlrev_b32_e32 v8, 4, v8
	s_movk_i32 s0, 0x1fc
	v_fmac_f64_e32 v[128:129], v[78:79], v[144:145]
	v_mul_f64 v[132:133], v[88:89], v[146:147]
	v_add_f64 v[78:79], v[18:19], -v[24:25]
	ds_write_b128 v55, v[56:59]
	ds_write_b128 v8, v[72:75]
	v_accvgpr_write_b32 a113, v8
	ds_write_b128 v8, v[60:63] offset:32
	v_and_or_b32 v8, v140, s0, v138
	v_fmac_f64_e32 v[132:133], v[90:91], v[144:145]
	v_mul_f64 v[136:137], v[92:93], v[146:147]
	v_fma_f64 v[88:89], v[16:17], 2.0, -v[76:77]
	v_fma_f64 v[90:91], v[18:19], 2.0, -v[78:79]
	v_lshlrev_b32_e32 v8, 4, v8
	v_fmac_f64_e32 v[136:137], v[94:95], v[144:145]
	v_add_f64 v[92:93], v[20:21], -v[26:27]
	v_add_f64 v[94:95], v[22:23], -v[28:29]
	ds_write_b128 v8, v[88:91]
	v_accvgpr_write_b32 a112, v8
	ds_write_b128 v8, v[76:79] offset:32
	v_and_or_b32 v8, v141, s0, v138
	v_fma_f64 v[96:97], v[20:21], 2.0, -v[92:93]
	v_fma_f64 v[98:99], v[22:23], 2.0, -v[94:95]
	v_lshlrev_b32_e32 v8, 4, v8
	s_movk_i32 s0, 0x3fc
	v_add_f64 v[100:101], v[32:33], -v[30:31]
	v_add_f64 v[102:103], v[34:35], -v[40:41]
	ds_write_b128 v8, v[96:99]
	v_accvgpr_write_b32 a110, v8
	ds_write_b128 v8, v[92:95] offset:32
	v_and_or_b32 v8, v142, s0, v138
	v_fma_f64 v[104:105], v[32:33], 2.0, -v[100:101]
	v_fma_f64 v[106:107], v[34:35], 2.0, -v[102:103]
	v_lshlrev_b32_e32 v8, 4, v8
	v_add_f64 v[108:109], v[36:37], -v[42:43]
	v_add_f64 v[110:111], v[38:39], -v[44:45]
	ds_write_b128 v8, v[104:107]
	v_accvgpr_write_b32 a108, v8
	ds_write_b128 v8, v[100:103] offset:32
	v_and_or_b32 v8, v143, s1, v138
	v_fma_f64 v[112:113], v[36:37], 2.0, -v[108:109]
	v_fma_f64 v[114:115], v[38:39], 2.0, -v[110:111]
	v_lshlrev_b32_e32 v8, 4, v8
	;; [unrolled: 9-line block ×3, first 2 shown]
	v_add_f64 v[12:13], v[52:53], -v[118:119]
	ds_write_b128 v8, v[48:51]
	v_accvgpr_write_b32 a102, v8
	ds_write_b128 v8, v[0:3] offset:32
	v_and_or_b32 v8, v149, s0, v138
	v_fma_f64 v[4:5], v[52:53], 2.0, -v[12:13]
	v_lshlrev_b32_e32 v8, 4, v8
	v_add_f64 v[20:21], v[64:65], -v[122:123]
	v_add_f64 v[22:23], v[66:67], -v[124:125]
	ds_write_b128 v8, v[4:7]
	v_accvgpr_write_b32 a103, v8
	ds_write_b128 v8, v[12:15] offset:32
	v_and_or_b32 v8, v150, s0, v138
	v_fma_f64 v[16:17], v[64:65], 2.0, -v[20:21]
	v_fma_f64 v[18:19], v[66:67], 2.0, -v[22:23]
	v_lshlrev_b32_e32 v52, 1, v156
	v_lshlrev_b32_e32 v8, 4, v8
	s_movk_i32 s0, 0x7fc
	v_add_f64 v[28:29], v[68:69], -v[126:127]
	v_add_f64 v[30:31], v[70:71], -v[128:129]
	ds_write_b128 v8, v[16:19]
	v_accvgpr_write_b32 a104, v8
	ds_write_b128 v8, v[20:23] offset:32
	v_and_or_b32 v8, v52, s0, v138
	v_fma_f64 v[24:25], v[68:69], 2.0, -v[28:29]
	v_fma_f64 v[26:27], v[70:71], 2.0, -v[30:31]
	v_lshlrev_b32_e32 v53, 1, v154
	v_lshlrev_b32_e32 v8, 4, v8
	s_movk_i32 s0, 0x4fc
	v_add_f64 v[32:33], v[80:81], -v[130:131]
	v_add_f64 v[34:35], v[82:83], -v[132:133]
	ds_write_b128 v8, v[24:27]
	v_accvgpr_write_b32 a105, v8
	ds_write_b128 v8, v[28:31] offset:32
	v_and_or_b32 v8, v53, s0, v138
	v_fma_f64 v[36:37], v[80:81], 2.0, -v[32:33]
	v_fma_f64 v[38:39], v[82:83], 2.0, -v[34:35]
	v_lshlrev_b32_e32 v54, 1, v152
	v_lshlrev_b32_e32 v8, 4, v8
	v_add_f64 v[40:41], v[84:85], -v[134:135]
	v_add_f64 v[42:43], v[86:87], -v[136:137]
	ds_write_b128 v8, v[36:39]
	v_accvgpr_write_b32 a106, v8
	ds_write_b128 v8, v[32:35] offset:32
	v_and_or_b32 v8, v54, s0, v138
	v_fma_f64 v[44:45], v[84:85], 2.0, -v[40:41]
	v_fma_f64 v[46:47], v[86:87], 2.0, -v[42:43]
	v_lshlrev_b32_e32 v8, 4, v8
	v_accvgpr_write_b32 a114, v55
	ds_write_b128 v8, v[44:47]
	v_accvgpr_write_b32 a107, v8
	ds_write_b128 v8, v[40:43] offset:32
	s_waitcnt lgkmcnt(0)
	; wave barrier
	s_waitcnt lgkmcnt(0)
	ds_read_b128 v[8:11], v248
	ds_read_b128 v[92:95], v248 offset:1536
	ds_read_b128 v[88:91], v248 offset:3072
	;; [unrolled: 1-line block ×12, first 2 shown]
                                        ; implicit-def: $vgpr148_vgpr149
                                        ; implicit-def: $vgpr152_vgpr153
	s_and_saveexec_b64 s[0:1], vcc
	s_cbranch_execz .LBB0_3
; %bb.2:
	ds_read_b128 v[0:3], v248 offset:832
	ds_read_b128 v[4:7], v248 offset:2368
	;; [unrolled: 1-line block ×13, first 2 shown]
.LBB0_3:
	s_or_b64 exec, exec, s[0:1]
	v_and_b32_e32 v177, 3, v160
	v_mul_u32_u24_e32 v96, 12, v177
	v_lshlrev_b32_e32 v120, 4, v96
	global_load_dwordx4 v[96:99], v120, s[10:11] offset:32
	global_load_dwordx4 v[100:103], v120, s[10:11] offset:48
	;; [unrolled: 1-line block ×11, first 2 shown]
	s_nop 0
	global_load_dwordx4 v[120:123], v120, s[10:11] offset:208
	v_mov_b32_e32 v176, v160
	s_mov_b32 s20, 0x4267c47c
	s_mov_b32 s14, 0x42a4c3d2
	;; [unrolled: 1-line block ×36, first 2 shown]
	s_waitcnt lgkmcnt(0)
	; wave barrier
	s_waitcnt lgkmcnt(0)
	v_accvgpr_write_b32 a0, v176
	v_accvgpr_write_b32 a31, v177
	s_waitcnt vmcnt(11)
	v_mul_f64 v[216:217], v[6:7], v[98:99]
	v_mul_f64 v[178:179], v[4:5], v[98:99]
	;; [unrolled: 1-line block ×4, first 2 shown]
	s_waitcnt vmcnt(7)
	v_mul_f64 v[186:187], v[24:25], v[114:115]
	s_waitcnt vmcnt(6)
	v_mul_f64 v[226:227], v[30:31], v[130:131]
	s_waitcnt vmcnt(5)
	v_mul_f64 v[190:191], v[68:69], v[126:127]
	v_mul_f64 v[202:203], v[70:71], v[126:127]
	s_waitcnt vmcnt(3)
	v_mul_f64 v[198:199], v[60:61], v[142:143]
	s_waitcnt vmcnt(2)
	;; [unrolled: 2-line block ×3, first 2 shown]
	v_mul_f64 v[210:211], v[54:55], v[134:135]
	v_mul_f64 v[160:161], v[52:53], v[134:135]
	v_fmac_f64_e32 v[190:191], v[70:71], v[124:125]
	v_fma_f64 v[70:71], v[52:53], v[132:133], -v[210:211]
	v_fma_f64 v[52:53], v[4:5], v[96:97], -v[216:217]
	v_mul_f64 v[4:5], v[38:39], v[126:127]
	v_mul_f64 v[206:207], v[62:63], v[142:143]
	;; [unrolled: 1-line block ×4, first 2 shown]
	v_fmac_f64_e32 v[198:199], v[62:63], v[140:141]
	v_fma_f64 v[62:63], v[56:57], v[136:137], -v[208:209]
	v_fmac_f64_e32 v[186:187], v[26:27], v[112:113]
	v_fma_f64 v[26:27], v[28:29], v[128:129], -v[226:227]
	v_mul_f64 v[56:57], v[28:29], v[130:131]
	v_fma_f64 v[28:29], v[36:37], v[124:125], -v[4:5]
	v_mul_f64 v[4:5], v[34:35], v[118:119]
	v_fmac_f64_e32 v[56:57], v[30:31], v[128:129]
	v_fma_f64 v[30:31], v[32:33], v[116:117], -v[4:5]
	v_mul_f64 v[4:5], v[46:47], v[142:143]
	v_fmac_f64_e32 v[164:165], v[58:59], v[136:137]
	v_mul_f64 v[58:59], v[32:33], v[118:119]
	v_fma_f64 v[32:33], v[44:45], v[140:141], -v[4:5]
	v_mul_f64 v[4:5], v[42:43], v[138:139]
	v_mul_f64 v[36:37], v[36:37], v[126:127]
	v_fmac_f64_e32 v[58:59], v[34:35], v[116:117]
	v_fma_f64 v[34:35], v[40:41], v[136:137], -v[4:5]
	v_mul_f64 v[4:5], v[150:151], v[134:135]
	v_mul_f64 v[166:167], v[90:91], v[102:103]
	v_fma_f64 v[92:93], v[92:93], v[96:97], -v[158:159]
	v_fmac_f64_e32 v[36:37], v[38:39], v[124:125]
	v_mul_f64 v[44:45], v[44:45], v[142:143]
	v_fma_f64 v[38:39], v[148:149], v[132:133], -v[4:5]
	s_waitcnt vmcnt(0)
	v_mul_f64 v[4:5], v[154:155], v[122:123]
	v_mul_f64 v[156:157], v[88:89], v[102:103]
	;; [unrolled: 1-line block ×3, first 2 shown]
	v_fma_f64 v[88:89], v[88:89], v[100:101], -v[166:167]
	v_fmac_f64_e32 v[44:45], v[46:47], v[140:141]
	v_mul_f64 v[46:47], v[40:41], v[138:139]
	v_fma_f64 v[40:41], v[152:153], v[120:121], -v[4:5]
	v_add_f64 v[4:5], v[8:9], v[92:93]
	v_mul_f64 v[200:201], v[84:85], v[106:107]
	v_mul_f64 v[170:171], v[82:83], v[110:111]
	v_fma_f64 v[84:85], v[84:85], v[104:105], -v[168:169]
	v_add_f64 v[4:5], v[4:5], v[88:89]
	v_mul_f64 v[196:197], v[80:81], v[110:111]
	;; [unrolled: 4-line block ×4, first 2 shown]
	v_fma_f64 v[72:73], v[72:73], v[128:129], -v[174:175]
	v_add_f64 v[4:5], v[4:5], v[76:77]
	v_mul_f64 v[204:205], v[66:67], v[118:119]
	v_fma_f64 v[68:69], v[68:69], v[124:125], -v[202:203]
	v_add_f64 v[4:5], v[4:5], v[72:73]
	v_mul_f64 v[194:195], v[64:65], v[118:119]
	;; [unrolled: 3-line block ×3, first 2 shown]
	v_fmac_f64_e32 v[194:195], v[66:67], v[116:117]
	v_fma_f64 v[66:67], v[60:61], v[140:141], -v[206:207]
	v_add_f64 v[4:5], v[4:5], v[64:65]
	v_mul_f64 v[212:213], v[50:51], v[122:123]
	v_mul_f64 v[182:183], v[16:17], v[106:107]
	v_fmac_f64_e32 v[162:163], v[94:95], v[96:97]
	v_fmac_f64_e32 v[214:215], v[50:51], v[120:121]
	v_add_f64 v[4:5], v[4:5], v[66:67]
	v_mul_f64 v[218:219], v[14:15], v[102:103]
	v_mul_f64 v[180:181], v[12:13], v[102:103]
	;; [unrolled: 1-line block ×4, first 2 shown]
	v_fma_f64 v[48:49], v[48:49], v[120:121], -v[212:213]
	v_fmac_f64_e32 v[182:183], v[18:19], v[104:105]
	v_fmac_f64_e32 v[46:47], v[42:43], v[136:137]
	v_mul_f64 v[42:43], v[148:149], v[134:135]
	v_add_f64 v[4:5], v[4:5], v[62:63]
	v_add_f64 v[18:19], v[162:163], -v[214:215]
	v_mul_f64 v[184:185], v[20:21], v[110:111]
	v_fmac_f64_e32 v[156:157], v[90:91], v[100:101]
	v_fmac_f64_e32 v[188:189], v[74:75], v[128:129]
	;; [unrolled: 1-line block ×4, first 2 shown]
	v_fma_f64 v[54:55], v[12:13], v[100:101], -v[218:219]
	v_fmac_f64_e32 v[180:181], v[14:15], v[100:101]
	v_fma_f64 v[204:205], v[16:17], v[104:105], -v[220:221]
	v_fma_f64 v[206:207], v[20:21], v[108:109], -v[222:223]
	v_fmac_f64_e32 v[42:43], v[150:151], v[132:133]
	v_mul_f64 v[60:61], v[152:153], v[122:123]
	v_add_f64 v[6:7], v[10:11], v[162:163]
	v_add_f64 v[4:5], v[4:5], v[70:71]
	;; [unrolled: 1-line block ×4, first 2 shown]
	v_add_f64 v[16:17], v[92:93], -v[48:49]
	v_mul_f64 v[20:21], v[18:19], s[20:21]
	v_mul_f64 v[74:75], v[18:19], s[14:15]
	;; [unrolled: 1-line block ×6, first 2 shown]
	v_fmac_f64_e32 v[196:197], v[82:83], v[108:109]
	v_fmac_f64_e32 v[192:193], v[78:79], v[112:113]
	;; [unrolled: 1-line block ×4, first 2 shown]
	v_add_f64 v[4:5], v[4:5], v[48:49]
	v_fma_f64 v[22:23], v[12:13], s[0:1], -v[20:21]
	v_mul_f64 v[48:49], v[16:17], s[20:21]
	v_fmac_f64_e32 v[20:21], s[0:1], v[12:13]
	v_fma_f64 v[78:79], v[12:13], s[12:13], -v[74:75]
	v_mul_f64 v[82:83], v[16:17], s[14:15]
	v_fmac_f64_e32 v[74:75], s[12:13], v[12:13]
	;; [unrolled: 3-line block ×6, first 2 shown]
	v_fmac_f64_e32 v[200:201], v[86:87], v[104:105]
	v_add_f64 v[22:23], v[8:9], v[22:23]
	v_fma_f64 v[50:51], s[0:1], v[14:15], v[48:49]
	v_add_f64 v[20:21], v[8:9], v[20:21]
	v_fma_f64 v[48:49], v[14:15], s[0:1], -v[48:49]
	v_add_f64 v[78:79], v[8:9], v[78:79]
	v_fma_f64 v[86:87], s[12:13], v[14:15], v[82:83]
	v_add_f64 v[74:75], v[8:9], v[74:75]
	v_fma_f64 v[82:83], v[14:15], s[12:13], -v[82:83]
	;; [unrolled: 4-line block ×6, first 2 shown]
	v_add_f64 v[18:19], v[156:157], -v[160:161]
	v_add_f64 v[50:51], v[10:11], v[50:51]
	v_add_f64 v[48:49], v[10:11], v[48:49]
	;; [unrolled: 1-line block ×13, first 2 shown]
	v_add_f64 v[16:17], v[88:89], -v[70:71]
	v_mul_f64 v[70:71], v[18:19], s[14:15]
	v_fma_f64 v[88:89], v[12:13], s[12:13], -v[70:71]
	v_add_f64 v[14:15], v[156:157], v[160:161]
	v_add_f64 v[22:23], v[88:89], v[22:23]
	v_mul_f64 v[88:89], v[16:17], s[14:15]
	v_fmac_f64_e32 v[70:71], s[12:13], v[12:13]
	v_add_f64 v[20:21], v[70:71], v[20:21]
	v_fma_f64 v[70:71], v[14:15], s[12:13], -v[88:89]
	v_add_f64 v[48:49], v[70:71], v[48:49]
	v_mul_f64 v[70:71], v[18:19], s[34:35]
	v_add_f64 v[6:7], v[6:7], v[156:157]
	v_fma_f64 v[156:157], s[12:13], v[14:15], v[88:89]
	v_fma_f64 v[88:89], v[12:13], s[22:23], -v[70:71]
	v_add_f64 v[78:79], v[88:89], v[78:79]
	v_mul_f64 v[88:89], v[16:17], s[34:35]
	v_fmac_f64_e32 v[70:71], s[22:23], v[12:13]
	v_add_f64 v[70:71], v[70:71], v[74:75]
	v_fma_f64 v[74:75], v[14:15], s[22:23], -v[88:89]
	v_add_f64 v[74:75], v[74:75], v[82:83]
	v_mul_f64 v[82:83], v[18:19], s[30:31]
	v_add_f64 v[50:51], v[156:157], v[50:51]
	v_fma_f64 v[156:157], s[22:23], v[14:15], v[88:89]
	v_fma_f64 v[88:89], v[12:13], s[28:29], -v[82:83]
	v_add_f64 v[88:89], v[88:89], v[92:93]
	v_mul_f64 v[92:93], v[16:17], s[30:31]
	v_fmac_f64_e32 v[82:83], s[28:29], v[12:13]
	v_add_f64 v[86:87], v[156:157], v[86:87]
	v_fma_f64 v[156:157], s[28:29], v[14:15], v[92:93]
	v_add_f64 v[82:83], v[82:83], v[90:91]
	v_fma_f64 v[90:91], v[14:15], s[28:29], -v[92:93]
	v_mul_f64 v[92:93], v[18:19], s[38:39]
	v_add_f64 v[6:7], v[6:7], v[200:201]
	v_add_f64 v[90:91], v[90:91], v[94:95]
	v_fma_f64 v[94:95], v[12:13], s[24:25], -v[92:93]
	v_add_f64 v[6:7], v[6:7], v[196:197]
	v_add_f64 v[94:95], v[94:95], v[152:153]
	v_mul_f64 v[152:153], v[16:17], s[38:39]
	v_fmac_f64_e32 v[92:93], s[24:25], v[12:13]
	v_add_f64 v[6:7], v[6:7], v[192:193]
	v_add_f64 v[148:149], v[156:157], v[148:149]
	v_fma_f64 v[156:157], s[24:25], v[14:15], v[152:153]
	v_add_f64 v[92:93], v[92:93], v[150:151]
	v_fma_f64 v[150:151], v[14:15], s[24:25], -v[152:153]
	v_mul_f64 v[152:153], v[18:19], s[40:41]
	v_add_f64 v[6:7], v[6:7], v[188:189]
	v_add_f64 v[150:151], v[150:151], v[154:155]
	v_fma_f64 v[154:155], v[12:13], s[16:17], -v[152:153]
	v_fmac_f64_e32 v[152:153], s[16:17], v[12:13]
	v_mul_f64 v[18:19], v[18:19], s[36:37]
	v_add_f64 v[6:7], v[6:7], v[190:191]
	v_add_f64 v[156:157], v[156:157], v[158:159]
	v_mul_f64 v[158:159], v[16:17], s[40:41]
	v_add_f64 v[152:153], v[152:153], v[162:163]
	v_fma_f64 v[162:163], v[12:13], s[0:1], -v[18:19]
	v_mul_f64 v[16:17], v[16:17], s[36:37]
	v_fmac_f64_e32 v[18:19], s[0:1], v[12:13]
	v_add_f64 v[6:7], v[6:7], v[194:195]
	v_add_f64 v[8:9], v[18:19], v[8:9]
	v_fma_f64 v[12:13], v[14:15], s[0:1], -v[16:17]
	v_add_f64 v[18:19], v[200:201], -v[164:165]
	v_add_f64 v[6:7], v[6:7], v[198:199]
	v_add_f64 v[154:155], v[154:155], v[166:167]
	v_fma_f64 v[166:167], s[0:1], v[14:15], v[16:17]
	v_add_f64 v[10:11], v[12:13], v[10:11]
	v_add_f64 v[12:13], v[84:85], v[62:63]
	v_add_f64 v[16:17], v[84:85], -v[62:63]
	v_mul_f64 v[62:63], v[18:19], s[18:19]
	v_add_f64 v[6:7], v[6:7], v[164:165]
	v_fma_f64 v[84:85], v[12:13], s[16:17], -v[62:63]
	v_add_f64 v[6:7], v[6:7], v[160:161]
	v_fma_f64 v[160:161], s[16:17], v[14:15], v[158:159]
	v_fma_f64 v[158:159], v[14:15], s[16:17], -v[158:159]
	v_add_f64 v[14:15], v[200:201], v[164:165]
	v_add_f64 v[22:23], v[84:85], v[22:23]
	v_mul_f64 v[84:85], v[16:17], s[18:19]
	v_fmac_f64_e32 v[62:63], s[16:17], v[12:13]
	v_add_f64 v[20:21], v[62:63], v[20:21]
	v_fma_f64 v[62:63], v[14:15], s[16:17], -v[84:85]
	v_add_f64 v[48:49], v[62:63], v[48:49]
	v_mul_f64 v[62:63], v[18:19], s[30:31]
	v_fma_f64 v[164:165], s[16:17], v[14:15], v[84:85]
	v_fma_f64 v[84:85], v[12:13], s[28:29], -v[62:63]
	v_add_f64 v[78:79], v[84:85], v[78:79]
	v_mul_f64 v[84:85], v[16:17], s[30:31]
	v_fmac_f64_e32 v[62:63], s[28:29], v[12:13]
	v_add_f64 v[62:63], v[62:63], v[70:71]
	v_fma_f64 v[70:71], v[14:15], s[28:29], -v[84:85]
	v_add_f64 v[70:71], v[70:71], v[74:75]
	v_mul_f64 v[74:75], v[18:19], s[42:43]
	v_add_f64 v[50:51], v[164:165], v[50:51]
	v_fma_f64 v[164:165], s[28:29], v[14:15], v[84:85]
	v_fma_f64 v[84:85], v[12:13], s[22:23], -v[74:75]
	v_add_f64 v[84:85], v[84:85], v[88:89]
	v_mul_f64 v[88:89], v[16:17], s[42:43]
	v_fmac_f64_e32 v[74:75], s[22:23], v[12:13]
	v_add_f64 v[86:87], v[164:165], v[86:87]
	v_fma_f64 v[164:165], s[22:23], v[14:15], v[88:89]
	v_add_f64 v[74:75], v[74:75], v[82:83]
	v_fma_f64 v[82:83], v[14:15], s[22:23], -v[88:89]
	v_mul_f64 v[88:89], v[18:19], s[36:37]
	v_add_f64 v[82:83], v[82:83], v[90:91]
	v_fma_f64 v[90:91], v[12:13], s[0:1], -v[88:89]
	v_add_f64 v[90:91], v[90:91], v[94:95]
	v_mul_f64 v[94:95], v[16:17], s[36:37]
	v_fmac_f64_e32 v[88:89], s[0:1], v[12:13]
	v_add_f64 v[148:149], v[164:165], v[148:149]
	v_fma_f64 v[164:165], s[0:1], v[14:15], v[94:95]
	v_add_f64 v[88:89], v[88:89], v[92:93]
	v_fma_f64 v[92:93], v[14:15], s[0:1], -v[94:95]
	v_mul_f64 v[94:95], v[18:19], s[14:15]
	v_add_f64 v[92:93], v[92:93], v[150:151]
	v_fma_f64 v[150:151], v[12:13], s[12:13], -v[94:95]
	v_add_f64 v[150:151], v[150:151], v[154:155]
	v_mul_f64 v[154:155], v[16:17], s[14:15]
	v_fmac_f64_e32 v[94:95], s[12:13], v[12:13]
	v_mul_f64 v[18:19], v[18:19], s[26:27]
	v_add_f64 v[156:157], v[164:165], v[156:157]
	v_fma_f64 v[164:165], s[12:13], v[14:15], v[154:155]
	v_add_f64 v[94:95], v[94:95], v[152:153]
	v_fma_f64 v[152:153], v[14:15], s[12:13], -v[154:155]
	v_fma_f64 v[154:155], v[12:13], s[24:25], -v[18:19]
	v_mul_f64 v[16:17], v[16:17], s[26:27]
	v_fmac_f64_e32 v[18:19], s[24:25], v[12:13]
	v_add_f64 v[158:159], v[158:159], v[168:169]
	v_add_f64 v[8:9], v[18:19], v[8:9]
	v_fma_f64 v[12:13], v[14:15], s[24:25], -v[16:17]
	v_add_f64 v[18:19], v[196:197], -v[198:199]
	v_add_f64 v[152:153], v[152:153], v[158:159]
	v_fma_f64 v[158:159], s[24:25], v[14:15], v[16:17]
	v_add_f64 v[10:11], v[12:13], v[10:11]
	v_add_f64 v[12:13], v[80:81], v[66:67]
	v_add_f64 v[16:17], v[80:81], -v[66:67]
	v_mul_f64 v[66:67], v[18:19], s[34:35]
	v_fma_f64 v[80:81], v[12:13], s[22:23], -v[66:67]
	v_add_f64 v[14:15], v[196:197], v[198:199]
	v_add_f64 v[22:23], v[80:81], v[22:23]
	v_mul_f64 v[80:81], v[16:17], s[34:35]
	v_fmac_f64_e32 v[66:67], s[22:23], v[12:13]
	v_add_f64 v[20:21], v[66:67], v[20:21]
	v_fma_f64 v[66:67], v[14:15], s[22:23], -v[80:81]
	v_add_f64 v[162:163], v[162:163], v[172:173]
	v_add_f64 v[48:49], v[66:67], v[48:49]
	v_mul_f64 v[66:67], v[18:19], s[38:39]
	v_add_f64 v[154:155], v[154:155], v[162:163]
	v_fma_f64 v[162:163], s[22:23], v[14:15], v[80:81]
	v_fma_f64 v[80:81], v[12:13], s[24:25], -v[66:67]
	v_add_f64 v[78:79], v[80:81], v[78:79]
	v_mul_f64 v[80:81], v[16:17], s[38:39]
	v_fmac_f64_e32 v[66:67], s[24:25], v[12:13]
	v_add_f64 v[62:63], v[66:67], v[62:63]
	v_fma_f64 v[66:67], v[14:15], s[24:25], -v[80:81]
	v_add_f64 v[66:67], v[66:67], v[70:71]
	v_mul_f64 v[70:71], v[18:19], s[36:37]
	v_add_f64 v[50:51], v[162:163], v[50:51]
	v_fma_f64 v[162:163], s[24:25], v[14:15], v[80:81]
	v_fma_f64 v[80:81], v[12:13], s[0:1], -v[70:71]
	v_add_f64 v[80:81], v[80:81], v[84:85]
	v_mul_f64 v[84:85], v[16:17], s[36:37]
	v_fmac_f64_e32 v[70:71], s[0:1], v[12:13]
	v_add_f64 v[70:71], v[70:71], v[74:75]
	v_fma_f64 v[74:75], v[14:15], s[0:1], -v[84:85]
	v_add_f64 v[74:75], v[74:75], v[82:83]
	v_mul_f64 v[82:83], v[18:19], s[18:19]
	v_add_f64 v[86:87], v[162:163], v[86:87]
	v_fma_f64 v[162:163], s[0:1], v[14:15], v[84:85]
	v_fma_f64 v[84:85], v[12:13], s[16:17], -v[82:83]
	v_add_f64 v[84:85], v[84:85], v[90:91]
	v_mul_f64 v[90:91], v[16:17], s[18:19]
	v_fmac_f64_e32 v[82:83], s[16:17], v[12:13]
	v_add_f64 v[148:149], v[162:163], v[148:149]
	v_fma_f64 v[162:163], s[16:17], v[14:15], v[90:91]
	v_add_f64 v[82:83], v[82:83], v[88:89]
	v_fma_f64 v[88:89], v[14:15], s[16:17], -v[90:91]
	v_mul_f64 v[90:91], v[18:19], s[44:45]
	v_add_f64 v[88:89], v[88:89], v[92:93]
	v_fma_f64 v[92:93], v[12:13], s[28:29], -v[90:91]
	v_add_f64 v[92:93], v[92:93], v[150:151]
	v_mul_f64 v[150:151], v[16:17], s[44:45]
	v_fmac_f64_e32 v[90:91], s[28:29], v[12:13]
	v_mul_f64 v[18:19], v[18:19], s[46:47]
	v_add_f64 v[156:157], v[162:163], v[156:157]
	v_fma_f64 v[162:163], s[28:29], v[14:15], v[150:151]
	v_add_f64 v[90:91], v[90:91], v[94:95]
	v_fma_f64 v[94:95], v[14:15], s[28:29], -v[150:151]
	v_fma_f64 v[150:151], v[12:13], s[12:13], -v[18:19]
	v_mul_f64 v[16:17], v[16:17], s[46:47]
	v_fmac_f64_e32 v[18:19], s[12:13], v[12:13]
	v_add_f64 v[8:9], v[18:19], v[8:9]
	v_fma_f64 v[12:13], v[14:15], s[12:13], -v[16:17]
	v_add_f64 v[18:19], v[192:193], -v[194:195]
	v_add_f64 v[94:95], v[94:95], v[152:153]
	v_fma_f64 v[152:153], s[12:13], v[14:15], v[16:17]
	v_add_f64 v[10:11], v[12:13], v[10:11]
	v_add_f64 v[12:13], v[76:77], v[64:65]
	v_add_f64 v[16:17], v[76:77], -v[64:65]
	v_mul_f64 v[64:65], v[18:19], s[26:27]
	v_fma_f64 v[76:77], v[12:13], s[24:25], -v[64:65]
	v_add_f64 v[14:15], v[192:193], v[194:195]
	v_add_f64 v[22:23], v[76:77], v[22:23]
	v_mul_f64 v[76:77], v[16:17], s[26:27]
	v_fmac_f64_e32 v[64:65], s[24:25], v[12:13]
	v_add_f64 v[64:65], v[64:65], v[20:21]
	v_fma_f64 v[20:21], v[14:15], s[24:25], -v[76:77]
	v_add_f64 v[48:49], v[20:21], v[48:49]
	v_mul_f64 v[20:21], v[18:19], s[40:41]
	v_add_f64 v[150:151], v[150:151], v[154:155]
	v_fma_f64 v[154:155], s[24:25], v[14:15], v[76:77]
	v_fma_f64 v[76:77], v[12:13], s[16:17], -v[20:21]
	v_add_f64 v[76:77], v[76:77], v[78:79]
	v_mul_f64 v[78:79], v[16:17], s[40:41]
	v_fmac_f64_e32 v[20:21], s[16:17], v[12:13]
	v_add_f64 v[62:63], v[20:21], v[62:63]
	v_fma_f64 v[20:21], v[14:15], s[16:17], -v[78:79]
	v_add_f64 v[66:67], v[20:21], v[66:67]
	v_mul_f64 v[20:21], v[18:19], s[14:15]
	v_add_f64 v[50:51], v[154:155], v[50:51]
	v_fma_f64 v[154:155], s[16:17], v[14:15], v[78:79]
	v_fma_f64 v[78:79], v[12:13], s[12:13], -v[20:21]
	;; [unrolled: 10-line block ×3, first 2 shown]
	v_add_f64 v[80:81], v[80:81], v[84:85]
	v_mul_f64 v[84:85], v[16:17], s[44:45]
	v_fmac_f64_e32 v[20:21], s[28:29], v[12:13]
	v_add_f64 v[82:83], v[20:21], v[82:83]
	v_fma_f64 v[20:21], v[14:15], s[28:29], -v[84:85]
	v_add_f64 v[148:149], v[154:155], v[148:149]
	v_fma_f64 v[154:155], s[28:29], v[14:15], v[84:85]
	v_add_f64 v[84:85], v[20:21], v[88:89]
	v_mul_f64 v[20:21], v[18:19], s[36:37]
	v_fma_f64 v[88:89], v[12:13], s[0:1], -v[20:21]
	v_add_f64 v[88:89], v[88:89], v[92:93]
	v_mul_f64 v[92:93], v[16:17], s[36:37]
	v_fmac_f64_e32 v[20:21], s[0:1], v[12:13]
	v_add_f64 v[166:167], v[166:167], v[174:175]
	v_add_f64 v[90:91], v[20:21], v[90:91]
	v_fma_f64 v[20:21], v[14:15], s[0:1], -v[92:93]
	v_mul_f64 v[18:19], v[18:19], s[34:35]
	v_add_f64 v[158:159], v[158:159], v[166:167]
	v_add_f64 v[154:155], v[154:155], v[156:157]
	v_fma_f64 v[156:157], s[0:1], v[14:15], v[92:93]
	v_add_f64 v[92:93], v[20:21], v[94:95]
	v_fma_f64 v[20:21], v[12:13], s[22:23], -v[18:19]
	v_mul_f64 v[16:17], v[16:17], s[34:35]
	v_add_f64 v[152:153], v[152:153], v[158:159]
	v_add_f64 v[94:95], v[20:21], v[150:151]
	v_fma_f64 v[20:21], s[22:23], v[14:15], v[16:17]
	v_fmac_f64_e32 v[18:19], s[22:23], v[12:13]
	v_add_f64 v[150:151], v[20:21], v[152:153]
	v_add_f64 v[152:153], v[18:19], v[8:9]
	v_fma_f64 v[8:9], v[14:15], s[22:23], -v[16:17]
	v_add_f64 v[172:173], v[72:73], v[68:69]
	v_add_f64 v[68:69], v[72:73], -v[68:69]
	v_add_f64 v[72:73], v[188:189], -v[190:191]
	v_add_f64 v[174:175], v[8:9], v[10:11]
	v_mul_f64 v[8:9], v[72:73], s[30:31]
	v_fma_f64 v[10:11], v[172:173], s[28:29], -v[8:9]
	v_add_f64 v[192:193], v[188:189], v[190:191]
	v_add_f64 v[20:21], v[10:11], v[22:23]
	v_mul_f64 v[10:11], v[68:69], s[30:31]
	v_add_f64 v[160:161], v[160:161], v[170:171]
	v_fma_f64 v[12:13], s[28:29], v[192:193], v[10:11]
	v_add_f64 v[160:161], v[164:165], v[160:161]
	v_add_f64 v[22:23], v[12:13], v[50:51]
	v_mul_f64 v[12:13], v[72:73], s[36:37]
	v_add_f64 v[160:161], v[162:163], v[160:161]
	v_fma_f64 v[14:15], v[172:173], s[0:1], -v[12:13]
	v_add_f64 v[158:159], v[156:157], v[160:161]
	v_add_f64 v[160:161], v[14:15], v[76:77]
	v_mul_f64 v[14:15], v[68:69], s[36:37]
	v_fma_f64 v[16:17], s[0:1], v[192:193], v[14:15]
	v_add_f64 v[162:163], v[16:17], v[86:87]
	v_mul_f64 v[16:17], v[72:73], s[26:27]
	v_fma_f64 v[18:19], v[172:173], s[24:25], -v[16:17]
	v_fma_f64 v[10:11], v[192:193], s[28:29], -v[10:11]
	v_add_f64 v[164:165], v[18:19], v[78:79]
	v_mul_f64 v[18:19], v[68:69], s[26:27]
	v_add_f64 v[10:11], v[10:11], v[48:49]
	v_fma_f64 v[48:49], s[24:25], v[192:193], v[18:19]
	v_add_f64 v[166:167], v[48:49], v[148:149]
	v_mul_f64 v[48:49], v[72:73], s[46:47]
	v_fma_f64 v[50:51], v[172:173], s[12:13], -v[48:49]
	v_add_f64 v[244:245], v[50:51], v[80:81]
	v_mul_f64 v[50:51], v[68:69], s[46:47]
	v_fmac_f64_e32 v[48:49], s[12:13], v[172:173]
	v_add_f64 v[250:251], v[48:49], v[82:83]
	v_fma_f64 v[48:49], v[192:193], s[12:13], -v[50:51]
	v_fmac_f64_e32 v[12:13], s[0:1], v[172:173]
	v_add_f64 v[252:253], v[48:49], v[84:85]
	v_mul_f64 v[48:49], v[72:73], s[34:35]
	v_add_f64 v[12:13], v[12:13], v[62:63]
	v_fma_f64 v[62:63], s[12:13], v[192:193], v[50:51]
	v_fma_f64 v[50:51], v[172:173], s[22:23], -v[48:49]
	v_add_f64 v[156:157], v[50:51], v[88:89]
	v_mul_f64 v[50:51], v[68:69], s[34:35]
	v_fma_f64 v[14:15], v[192:193], s[0:1], -v[14:15]
	v_add_f64 v[246:247], v[62:63], v[154:155]
	v_fma_f64 v[62:63], s[22:23], v[192:193], v[50:51]
	v_fmac_f64_e32 v[48:49], s[22:23], v[172:173]
	v_add_f64 v[88:89], v[52:53], -v[40:41]
	v_fmac_f64_e32 v[8:9], s[28:29], v[172:173]
	v_add_f64 v[14:15], v[14:15], v[66:67]
	v_add_f64 v[158:159], v[62:63], v[158:159]
	;; [unrolled: 1-line block ×3, first 2 shown]
	v_fma_f64 v[48:49], v[192:193], s[22:23], -v[50:51]
	v_mul_f64 v[62:63], v[72:73], s[40:41]
	v_add_f64 v[194:195], v[178:179], v[60:61]
	v_add_f64 v[154:155], v[178:179], -v[60:61]
	v_mul_f64 v[66:67], v[88:89], s[20:21]
	v_add_f64 v[8:9], v[8:9], v[64:65]
	v_fma_f64 v[18:19], v[192:193], s[24:25], -v[18:19]
	v_add_f64 v[170:171], v[48:49], v[92:93]
	v_fma_f64 v[48:49], v[172:173], s[16:17], -v[62:63]
	v_mul_f64 v[64:65], v[68:69], s[40:41]
	v_fmac_f64_e32 v[62:63], s[16:17], v[172:173]
	v_add_f64 v[80:81], v[52:53], v[40:41]
	v_fma_f64 v[68:69], v[194:195], s[0:1], -v[66:67]
	v_mul_f64 v[72:73], v[154:155], s[14:15]
	v_fmac_f64_e32 v[16:17], s[24:25], v[172:173]
	v_add_f64 v[18:19], v[18:19], v[74:75]
	v_add_f64 v[172:173], v[62:63], v[152:153]
	v_fma_f64 v[62:63], v[192:193], s[16:17], -v[64:65]
	v_add_f64 v[74:75], v[2:3], v[68:69]
	v_mul_f64 v[76:77], v[88:89], s[14:15]
	v_fma_f64 v[68:69], s[12:13], v[80:81], v[72:73]
	v_fma_f64 v[50:51], s[16:17], v[192:193], v[64:65]
	v_add_f64 v[174:175], v[62:63], v[174:175]
	v_mul_f64 v[62:63], v[154:155], s[20:21]
	v_add_f64 v[82:83], v[0:1], v[68:69]
	v_fma_f64 v[68:69], v[194:195], s[12:13], -v[76:77]
	v_add_f64 v[196:197], v[180:181], -v[42:43]
	v_add_f64 v[50:51], v[50:51], v[150:151]
	v_fma_f64 v[64:65], s[0:1], v[80:81], v[62:63]
	v_add_f64 v[84:85], v[2:3], v[68:69]
	v_add_f64 v[90:91], v[54:55], v[38:39]
	v_add_f64 v[150:151], v[54:55], -v[38:39]
	v_mul_f64 v[68:69], v[196:197], s[14:15]
	v_add_f64 v[16:17], v[16:17], v[70:71]
	v_add_f64 v[64:65], v[0:1], v[64:65]
	;; [unrolled: 1-line block ×3, first 2 shown]
	v_mul_f64 v[70:71], v[150:151], s[14:15]
	v_fma_f64 v[78:79], s[12:13], v[90:91], v[68:69]
	v_add_f64 v[64:65], v[78:79], v[64:65]
	v_fma_f64 v[78:79], v[202:203], s[12:13], -v[70:71]
	v_add_f64 v[92:93], v[78:79], v[74:75]
	v_mul_f64 v[78:79], v[196:197], s[34:35]
	v_mul_f64 v[86:87], v[150:151], s[34:35]
	v_fma_f64 v[74:75], s[22:23], v[90:91], v[78:79]
	v_add_f64 v[212:213], v[74:75], v[82:83]
	v_fma_f64 v[74:75], v[202:203], s[22:23], -v[86:87]
	v_add_f64 v[208:209], v[182:183], -v[46:47]
	v_add_f64 v[216:217], v[74:75], v[84:85]
	v_add_f64 v[188:189], v[204:205], v[34:35]
	v_add_f64 v[198:199], v[204:205], -v[34:35]
	v_mul_f64 v[74:75], v[208:209], s[18:19]
	v_add_f64 v[220:221], v[182:183], v[46:47]
	v_mul_f64 v[82:83], v[198:199], s[18:19]
	v_fma_f64 v[84:85], s[16:17], v[188:189], v[74:75]
	v_add_f64 v[64:65], v[84:85], v[64:65]
	v_fma_f64 v[84:85], v[220:221], s[16:17], -v[82:83]
	v_accvgpr_write_b32 a156, v206
	v_add_f64 v[222:223], v[184:185], -v[44:45]
	v_add_f64 v[148:149], v[84:85], v[92:93]
	v_add_f64 v[200:201], v[206:207], v[32:33]
	v_accvgpr_write_b32 a157, v207
	v_add_f64 v[206:207], v[206:207], -v[32:33]
	v_mul_f64 v[84:85], v[222:223], s[34:35]
	v_add_f64 v[232:233], v[184:185], v[44:45]
	v_mul_f64 v[92:93], v[206:207], s[34:35]
	v_fma_f64 v[152:153], s[22:23], v[200:201], v[84:85]
	v_fma_f64 v[24:25], v[24:25], v[112:113], -v[224:225]
	v_accvgpr_write_b32 a150, v204
	v_add_f64 v[64:65], v[152:153], v[64:65]
	v_fma_f64 v[152:153], v[232:233], s[22:23], -v[92:93]
	v_add_f64 v[234:235], v[186:187], -v[58:59]
	v_accvgpr_write_b32 a151, v205
	v_add_f64 v[190:191], v[152:153], v[148:149]
	v_add_f64 v[204:205], v[24:25], v[30:31]
	v_add_f64 v[218:219], v[24:25], -v[30:31]
	v_mul_f64 v[148:149], v[234:235], s[26:27]
	v_add_f64 v[238:239], v[186:187], v[58:59]
	v_mul_f64 v[152:153], v[218:219], s[26:27]
	v_fma_f64 v[192:193], s[24:25], v[204:205], v[148:149]
	v_add_f64 v[64:65], v[192:193], v[64:65]
	v_fma_f64 v[192:193], v[238:239], s[24:25], -v[152:153]
	v_add_f64 v[240:241], v[56:57], -v[36:37]
	v_add_f64 v[6:7], v[6:7], v[214:215]
	v_add_f64 v[210:211], v[192:193], v[190:191]
	;; [unrolled: 1-line block ×3, first 2 shown]
	v_add_f64 v[230:231], v[26:27], -v[28:29]
	v_mul_f64 v[190:191], v[240:241], s[30:31]
	v_accvgpr_write_b32 a159, v25
	v_add_f64 v[242:243], v[56:57], v[36:37]
	v_mul_f64 v[192:193], v[230:231], s[30:31]
	v_fma_f64 v[224:225], s[28:29], v[214:215], v[190:191]
	v_add_f64 v[48:49], v[48:49], v[94:95]
	v_mul_f64 v[94:95], v[208:209], s[30:31]
	v_accvgpr_write_b32 a158, v24
	v_accvgpr_write_b32 a161, v27
	v_add_f64 v[24:25], v[224:225], v[64:65]
	v_fma_f64 v[64:65], v[242:243], s[28:29], -v[192:193]
	v_accvgpr_write_b32 a160, v26
	v_add_f64 v[26:27], v[64:65], v[210:211]
	v_mul_f64 v[210:211], v[198:199], s[30:31]
	v_fma_f64 v[64:65], s[28:29], v[188:189], v[94:95]
	v_add_f64 v[64:65], v[64:65], v[212:213]
	v_fma_f64 v[212:213], v[220:221], s[28:29], -v[210:211]
	v_add_f64 v[216:217], v[212:213], v[216:217]
	v_mul_f64 v[212:213], v[222:223], s[38:39]
	v_fma_f64 v[224:225], s[24:25], v[200:201], v[212:213]
	v_mul_f64 v[226:227], v[206:207], s[38:39]
	v_add_f64 v[64:65], v[224:225], v[64:65]
	v_fma_f64 v[224:225], v[232:233], s[24:25], -v[226:227]
	v_add_f64 v[224:225], v[224:225], v[216:217]
	v_mul_f64 v[216:217], v[234:235], s[40:41]
	v_fma_f64 v[228:229], s[16:17], v[204:205], v[216:217]
	v_add_f64 v[64:65], v[228:229], v[64:65]
	v_mul_f64 v[228:229], v[218:219], s[40:41]
	v_fma_f64 v[236:237], v[238:239], s[16:17], -v[228:229]
	v_add_f64 v[254:255], v[236:237], v[224:225]
	v_mul_f64 v[224:225], v[240:241], s[36:37]
	v_accvgpr_write_b32 a147, v27
	v_fma_f64 v[236:237], s[0:1], v[214:215], v[224:225]
	v_accvgpr_write_b32 a146, v26
	v_accvgpr_write_b32 a145, v25
	;; [unrolled: 1-line block ×3, first 2 shown]
	v_add_f64 v[24:25], v[236:237], v[64:65]
	v_mul_f64 v[236:237], v[230:231], s[36:37]
	v_fma_f64 v[64:65], v[242:243], s[0:1], -v[236:237]
	v_add_f64 v[26:27], v[64:65], v[254:255]
	v_accvgpr_write_b32 a155, v27
	v_accvgpr_write_b32 a154, v26
	;; [unrolled: 1-line block ×4, first 2 shown]
	v_lshrrev_b32_e32 v24, 2, v176
	v_mul_u32_u24_e32 v24, 52, v24
	v_or_b32_e32 v24, v24, v177
	v_lshlrev_b32_e32 v249, 4, v24
	ds_write_b128 v249, v[4:7]
	ds_write_b128 v249, v[20:23] offset:64
	ds_write_b128 v249, v[160:163] offset:128
	v_accvgpr_read_b32 v4, a100
	v_lshrrev_b32_e32 v4, 2, v4
	v_mov_b32_e32 v65, 0
	v_accvgpr_write_b32 a100, v4
	ds_write_b128 v249, v[164:167] offset:192
	ds_write_b128 v249, v[244:247] offset:256
	;; [unrolled: 1-line block ×10, first 2 shown]
	s_and_saveexec_b64 s[48:49], vcc
	s_cbranch_execz .LBB0_5
; %bb.4:
	v_mul_f64 v[4:5], v[80:81], s[0:1]
	v_accvgpr_write_b32 a179, v5
	v_accvgpr_write_b32 a178, v4
	v_mul_f64 v[4:5], v[194:195], s[0:1]
	v_accvgpr_write_b32 a185, v5
	v_accvgpr_write_b32 a184, v4
	;; [unrolled: 3-line block ×7, first 2 shown]
	v_mul_f64 v[4:5], v[200:201], s[22:23]
	v_mul_f64 v[48:49], v[194:195], s[28:29]
	v_accvgpr_write_b32 a187, v5
	v_mul_f64 v[20:21], v[202:203], s[0:1]
	v_fma_f64 v[50:51], s[44:45], v[88:89], v[48:49]
	v_accvgpr_write_b32 a195, v53
	v_mov_b64_e32 v[246:247], v[54:55]
	v_mul_f64 v[54:55], v[154:155], s[30:31]
	v_accvgpr_write_b32 a186, v4
	v_mul_f64 v[4:5], v[232:233], s[22:23]
	v_mul_f64 v[16:17], v[220:221], s[24:25]
	v_fma_f64 v[22:23], s[20:21], v[150:151], v[20:21]
	v_add_f64 v[50:51], v[2:3], v[50:51]
	v_accvgpr_write_b32 a194, v52
	v_mul_f64 v[52:53], v[196:197], s[36:37]
	v_fma_f64 v[164:165], s[28:29], v[80:81], v[54:55]
	v_accvgpr_write_b32 a199, v5
	v_mul_f64 v[12:13], v[232:233], s[12:13]
	v_fma_f64 v[18:19], s[38:39], v[198:199], v[16:17]
	v_add_f64 v[22:23], v[22:23], v[50:51]
	v_mul_f64 v[174:175], v[208:209], s[26:27]
	v_fma_f64 v[176:177], s[0:1], v[90:91], v[52:53]
	v_add_f64 v[164:165], v[0:1], v[164:165]
	v_accvgpr_write_b32 a198, v4
	v_mul_f64 v[4:5], v[204:205], s[24:25]
	v_mul_f64 v[10:11], v[238:239], s[22:23]
	v_fma_f64 v[14:15], s[14:15], v[206:207], v[12:13]
	v_add_f64 v[18:19], v[18:19], v[22:23]
	v_mul_f64 v[50:51], v[222:223], s[46:47]
	v_fma_f64 v[254:255], s[24:25], v[188:189], v[174:175]
	v_add_f64 v[164:165], v[176:177], v[164:165]
	v_accvgpr_write_b32 a191, v5
	v_mul_f64 v[8:9], v[242:243], s[16:17]
	v_fma_f64 v[6:7], s[42:43], v[218:219], v[10:11]
	v_add_f64 v[14:15], v[14:15], v[18:19]
	v_mul_f64 v[18:19], v[234:235], s[34:35]
	v_fma_f64 v[172:173], s[12:13], v[200:201], v[50:51]
	v_add_f64 v[164:165], v[254:255], v[164:165]
	v_accvgpr_write_b32 a190, v4
	v_fma_f64 v[4:5], s[18:19], v[230:231], v[8:9]
	v_add_f64 v[6:7], v[6:7], v[14:15]
	v_mul_f64 v[14:15], v[240:241], s[40:41]
	v_fma_f64 v[22:23], s[22:23], v[204:205], v[18:19]
	v_add_f64 v[164:165], v[172:173], v[164:165]
	v_add_f64 v[6:7], v[4:5], v[6:7]
	v_fma_f64 v[4:5], s[16:17], v[214:215], v[14:15]
	v_add_f64 v[22:23], v[22:23], v[164:165]
	v_fmac_f64_e32 v[48:49], s[30:31], v[88:89]
	v_add_f64 v[4:5], v[4:5], v[22:23]
	v_fmac_f64_e32 v[20:21], s[36:37], v[150:151]
	v_add_f64 v[22:23], v[2:3], v[48:49]
	v_fmac_f64_e32 v[16:17], s[26:27], v[198:199]
	v_add_f64 v[20:21], v[20:21], v[22:23]
	v_fmac_f64_e32 v[12:13], s[46:47], v[206:207]
	v_add_f64 v[16:17], v[16:17], v[20:21]
	v_fmac_f64_e32 v[10:11], s[34:35], v[218:219]
	v_add_f64 v[12:13], v[12:13], v[16:17]
	v_fma_f64 v[20:21], v[80:81], s[28:29], -v[54:55]
	v_mul_f64 v[164:165], v[194:195], s[24:25]
	v_accvgpr_write_b32 a173, v107
	v_add_f64 v[10:11], v[10:11], v[12:13]
	v_fma_f64 v[12:13], v[204:205], s[22:23], -v[18:19]
	v_fma_f64 v[18:19], v[90:91], s[0:1], -v[52:53]
	v_add_f64 v[20:21], v[0:1], v[20:21]
	v_mul_f64 v[52:53], v[202:203], s[16:17]
	v_fma_f64 v[172:173], s[38:39], v[88:89], v[164:165]
	v_accvgpr_write_b32 a172, v106
	v_accvgpr_write_b32 a171, v105
	;; [unrolled: 1-line block ×3, first 2 shown]
	v_mov_b64_e32 v[104:105], v[38:39]
	v_mov_b64_e32 v[38:39], v[28:29]
	v_mul_f64 v[28:29], v[154:155], s[26:27]
	v_fmac_f64_e32 v[8:9], s[40:41], v[230:231]
	v_fma_f64 v[16:17], v[188:189], s[24:25], -v[174:175]
	v_add_f64 v[18:19], v[18:19], v[20:21]
	v_mul_f64 v[48:49], v[220:221], s[12:13]
	v_fma_f64 v[54:55], s[18:19], v[150:151], v[52:53]
	v_add_f64 v[172:173], v[2:3], v[172:173]
	v_mul_f64 v[24:25], v[196:197], s[40:41]
	v_fma_f64 v[244:245], s[24:25], v[80:81], v[28:29]
	v_add_f64 v[10:11], v[8:9], v[10:11]
	v_fma_f64 v[8:9], v[214:215], s[16:17], -v[14:15]
	v_fma_f64 v[14:15], v[200:201], s[12:13], -v[50:51]
	v_add_f64 v[16:17], v[16:17], v[18:19]
	v_mul_f64 v[20:21], v[232:233], s[28:29]
	v_fma_f64 v[50:51], s[46:47], v[198:199], v[48:49]
	v_add_f64 v[54:55], v[54:55], v[172:173]
	v_mul_f64 v[176:177], v[208:209], s[14:15]
	v_fma_f64 v[26:27], s[16:17], v[90:91], v[24:25]
	v_add_f64 v[244:245], v[0:1], v[244:245]
	v_add_f64 v[14:15], v[14:15], v[16:17]
	v_mul_f64 v[18:19], v[238:239], s[0:1]
	v_fma_f64 v[22:23], s[30:31], v[206:207], v[20:21]
	v_add_f64 v[50:51], v[50:51], v[54:55]
	v_mul_f64 v[172:173], v[222:223], s[44:45]
	v_fma_f64 v[254:255], s[12:13], v[188:189], v[176:177]
	v_add_f64 v[26:27], v[26:27], v[244:245]
	v_add_f64 v[12:13], v[12:13], v[14:15]
	v_mul_f64 v[16:17], v[242:243], s[22:23]
	v_fma_f64 v[14:15], s[20:21], v[218:219], v[18:19]
	v_add_f64 v[22:23], v[22:23], v[50:51]
	v_mul_f64 v[50:51], v[234:235], s[36:37]
	v_fma_f64 v[174:175], s[28:29], v[200:201], v[172:173]
	v_add_f64 v[26:27], v[254:255], v[26:27]
	v_add_f64 v[8:9], v[8:9], v[12:13]
	v_fma_f64 v[12:13], s[42:43], v[230:231], v[16:17]
	v_add_f64 v[14:15], v[14:15], v[22:23]
	v_mul_f64 v[22:23], v[240:241], s[34:35]
	v_fma_f64 v[54:55], s[0:1], v[204:205], v[50:51]
	v_add_f64 v[26:27], v[174:175], v[26:27]
	v_add_f64 v[14:15], v[12:13], v[14:15]
	v_fma_f64 v[12:13], s[22:23], v[214:215], v[22:23]
	v_add_f64 v[26:27], v[54:55], v[26:27]
	v_fmac_f64_e32 v[164:165], s[26:27], v[88:89]
	v_add_f64 v[12:13], v[12:13], v[26:27]
	v_fmac_f64_e32 v[52:53], s[40:41], v[150:151]
	;; [unrolled: 2-line block ×6, first 2 shown]
	v_add_f64 v[18:19], v[18:19], v[20:21]
	v_add_f64 v[18:19], v[16:17], v[18:19]
	v_fma_f64 v[16:17], v[214:215], s[22:23], -v[22:23]
	v_fma_f64 v[22:23], v[200:201], s[28:29], -v[172:173]
	;; [unrolled: 1-line block ×3, first 2 shown]
	v_mul_f64 v[172:173], v[194:195], s[22:23]
	v_fma_f64 v[24:25], v[90:91], s[16:17], -v[24:25]
	v_add_f64 v[28:29], v[0:1], v[28:29]
	v_mul_f64 v[54:55], v[202:203], s[24:25]
	v_fma_f64 v[174:175], s[42:43], v[88:89], v[172:173]
	v_fma_f64 v[20:21], v[204:205], s[0:1], -v[50:51]
	v_fma_f64 v[26:27], v[188:189], s[12:13], -v[176:177]
	v_add_f64 v[24:25], v[24:25], v[28:29]
	v_mul_f64 v[50:51], v[220:221], s[0:1]
	v_fma_f64 v[164:165], s[26:27], v[150:151], v[54:55]
	v_add_f64 v[174:175], v[2:3], v[174:175]
	v_add_f64 v[24:25], v[26:27], v[24:25]
	v_mul_f64 v[28:29], v[232:233], s[16:17]
	v_fma_f64 v[52:53], s[20:21], v[198:199], v[50:51]
	v_add_f64 v[164:165], v[164:165], v[174:175]
	;; [unrolled: 4-line block ×3, first 2 shown]
	v_fmac_f64_e32 v[172:173], s[34:35], v[88:89]
	v_add_f64 v[20:21], v[20:21], v[22:23]
	v_mul_f64 v[24:25], v[242:243], s[12:13]
	v_fma_f64 v[22:23], s[30:31], v[218:219], v[26:27]
	v_add_f64 v[48:49], v[48:49], v[52:53]
	v_mul_f64 v[244:245], v[154:155], s[34:35]
	v_fmac_f64_e32 v[54:55], s[38:39], v[150:151]
	v_add_f64 v[172:173], v[2:3], v[172:173]
	v_add_f64 v[16:17], v[16:17], v[20:21]
	v_fma_f64 v[20:21], s[14:15], v[230:231], v[24:25]
	v_add_f64 v[22:23], v[22:23], v[48:49]
	v_mul_f64 v[176:177], v[196:197], s[38:39]
	v_fma_f64 v[254:255], s[22:23], v[80:81], v[244:245]
	v_add_f64 v[54:55], v[54:55], v[172:173]
	v_fmac_f64_e32 v[50:51], s[36:37], v[198:199]
	v_add_f64 v[22:23], v[20:21], v[22:23]
	v_mul_f64 v[174:175], v[208:209], s[36:37]
	v_fma_f64 v[20:21], s[24:25], v[90:91], v[176:177]
	v_add_f64 v[254:255], v[0:1], v[254:255]
	v_add_f64 v[50:51], v[50:51], v[54:55]
	v_fmac_f64_e32 v[28:29], s[18:19], v[206:207]
	v_mul_f64 v[164:165], v[222:223], s[18:19]
	v_add_f64 v[20:21], v[20:21], v[254:255]
	v_fma_f64 v[254:255], s[0:1], v[188:189], v[174:175]
	v_add_f64 v[28:29], v[28:29], v[50:51]
	v_fmac_f64_e32 v[26:27], s[44:45], v[218:219]
	v_mul_f64 v[52:53], v[234:235], s[44:45]
	v_add_f64 v[20:21], v[254:255], v[20:21]
	v_fma_f64 v[254:255], s[16:17], v[200:201], v[164:165]
	v_fmac_f64_e32 v[24:25], s[46:47], v[230:231]
	v_add_f64 v[26:27], v[26:27], v[28:29]
	v_fma_f64 v[28:29], v[200:201], s[16:17], -v[164:165]
	v_fma_f64 v[164:165], v[80:81], s[22:23], -v[244:245]
	v_mul_f64 v[170:171], v[194:195], s[12:13]
	v_mul_f64 v[48:49], v[240:241], s[46:47]
	v_add_f64 v[20:21], v[254:255], v[20:21]
	v_fma_f64 v[254:255], s[28:29], v[204:205], v[52:53]
	v_add_f64 v[50:51], v[24:25], v[26:27]
	v_fma_f64 v[26:27], v[204:205], s[28:29], -v[52:53]
	v_fma_f64 v[52:53], v[90:91], s[24:25], -v[176:177]
	v_add_f64 v[164:165], v[0:1], v[164:165]
	v_mul_f64 v[194:195], v[194:195], s[16:17]
	v_mul_f64 v[160:161], v[202:203], s[22:23]
	;; [unrolled: 1-line block ×3, first 2 shown]
	v_add_f64 v[20:21], v[254:255], v[20:21]
	v_fma_f64 v[254:255], s[12:13], v[214:215], v[48:49]
	v_fma_f64 v[24:25], v[214:215], s[12:13], -v[48:49]
	v_fma_f64 v[48:49], v[188:189], s[0:1], -v[174:175]
	v_add_f64 v[52:53], v[52:53], v[164:165]
	v_mul_f64 v[164:165], v[232:233], s[0:1]
	v_mul_f64 v[202:203], v[202:203], s[28:29]
	v_fma_f64 v[232:233], s[40:41], v[88:89], v[194:195]
	v_mul_f64 v[250:251], v[220:221], s[28:29]
	v_add_f64 v[48:49], v[48:49], v[52:53]
	v_mul_f64 v[176:177], v[220:221], s[22:23]
	v_fma_f64 v[220:221], s[44:45], v[150:151], v[202:203]
	v_add_f64 v[232:233], v[2:3], v[232:233]
	v_add_f64 v[28:29], v[28:29], v[48:49]
	v_fma_f64 v[174:175], s[34:35], v[198:199], v[176:177]
	v_add_f64 v[220:221], v[220:221], v[232:233]
	v_mul_f64 v[154:155], v[154:155], s[18:19]
	v_mul_f64 v[166:167], v[238:239], s[24:25]
	v_add_f64 v[20:21], v[254:255], v[20:21]
	v_mul_f64 v[254:255], v[238:239], s[16:17]
	v_add_f64 v[26:27], v[26:27], v[28:29]
	;; [unrolled: 2-line block ×3, first 2 shown]
	v_mul_f64 v[220:221], v[234:235], s[14:15]
	v_mul_f64 v[234:235], v[196:197], s[30:31]
	v_fma_f64 v[238:239], s[16:17], v[80:81], v[154:155]
	v_fma_f64 v[172:173], s[20:21], v[206:207], v[164:165]
	v_mul_f64 v[208:209], v[208:209], s[42:43]
	v_fma_f64 v[196:197], s[28:29], v[90:91], v[234:235]
	v_add_f64 v[238:239], v[0:1], v[238:239]
	v_add_f64 v[48:49], v[24:25], v[26:27]
	v_mul_f64 v[24:25], v[242:243], s[24:25]
	v_fma_f64 v[52:53], s[46:47], v[218:219], v[28:29]
	v_add_f64 v[172:173], v[172:173], v[174:175]
	v_mul_f64 v[222:223], v[222:223], s[36:37]
	v_add_f64 v[196:197], v[196:197], v[238:239]
	v_fma_f64 v[238:239], s[22:23], v[188:189], v[208:209]
	v_fma_f64 v[26:27], s[38:39], v[230:231], v[24:25]
	v_add_f64 v[52:53], v[52:53], v[172:173]
	v_fma_f64 v[232:233], s[0:1], v[200:201], v[222:223]
	v_add_f64 v[196:197], v[238:239], v[196:197]
	v_add_f64 v[174:175], v[26:27], v[52:53]
	v_mul_f64 v[26:27], v[240:241], s[26:27]
	v_fma_f64 v[172:173], s[12:13], v[204:205], v[220:221]
	v_add_f64 v[196:197], v[232:233], v[196:197]
	v_fma_f64 v[52:53], s[24:25], v[214:215], v[26:27]
	v_add_f64 v[172:173], v[172:173], v[196:197]
	v_fmac_f64_e32 v[194:195], s[18:19], v[88:89]
	v_add_f64 v[172:173], v[52:53], v[172:173]
	v_fmac_f64_e32 v[202:203], s[30:31], v[150:151]
	;; [unrolled: 2-line block ×4, first 2 shown]
	v_add_f64 v[52:53], v[176:177], v[52:53]
	v_fma_f64 v[80:81], v[80:81], s[16:17], -v[154:155]
	v_fmac_f64_e32 v[28:29], s[14:15], v[218:219]
	v_add_f64 v[52:53], v[164:165], v[52:53]
	v_fma_f64 v[88:89], v[90:91], s[28:29], -v[234:235]
	v_add_f64 v[80:81], v[0:1], v[80:81]
	v_fmac_f64_e32 v[24:25], s[26:27], v[230:231]
	v_add_f64 v[28:29], v[28:29], v[52:53]
	v_fma_f64 v[52:53], v[188:189], s[22:23], -v[208:209]
	v_add_f64 v[80:81], v[88:89], v[80:81]
	v_add_f64 v[196:197], v[24:25], v[28:29]
	v_fma_f64 v[28:29], v[200:201], s[0:1], -v[222:223]
	v_add_f64 v[52:53], v[52:53], v[80:81]
	v_accvgpr_write_b32 a169, v103
	v_fma_f64 v[24:25], v[214:215], s[24:25], -v[26:27]
	v_fma_f64 v[26:27], v[204:205], s[12:13], -v[220:221]
	v_add_f64 v[28:29], v[28:29], v[52:53]
	v_add_f64 v[76:77], v[76:77], v[170:171]
	v_accvgpr_write_b32 a168, v102
	v_accvgpr_write_b32 a167, v101
	;; [unrolled: 1-line block ×3, first 2 shown]
	v_mov_b64_e32 v[100:101], v[34:35]
	v_mul_f64 v[34:35], v[242:243], s[0:1]
	v_add_f64 v[26:27], v[26:27], v[28:29]
	v_add_f64 v[52:53], v[86:87], v[160:161]
	;; [unrolled: 1-line block ×11, first 2 shown]
	v_mul_f64 v[54:55], v[214:215], s[0:1]
	v_add_f64 v[26:27], v[26:27], v[28:29]
	v_add_f64 v[80:81], v[24:25], v[26:27]
	v_add_f64 v[24:25], v[54:55], -v[224:225]
	v_accvgpr_read_b32 v54, a196
	v_accvgpr_read_b32 v55, a197
	v_mul_f64 v[168:169], v[90:91], s[22:23]
	v_add_f64 v[54:55], v[54:55], -v[72:73]
	v_mul_f64 v[252:253], v[188:189], s[28:29]
	v_add_f64 v[52:53], v[168:169], -v[78:79]
	v_add_f64 v[54:55], v[0:1], v[54:55]
	v_mul_f64 v[158:159], v[200:201], s[24:25]
	v_add_f64 v[34:35], v[252:253], -v[94:95]
	v_add_f64 v[52:53], v[52:53], v[54:55]
	;; [unrolled: 3-line block ×3, first 2 shown]
	v_accvgpr_write_b32 a165, v99
	v_add_f64 v[26:27], v[156:157], -v[216:217]
	v_add_f64 v[28:29], v[28:29], v[34:35]
	v_accvgpr_read_b32 v52, a184
	v_accvgpr_write_b32 a164, v98
	v_accvgpr_write_b32 a163, v97
	;; [unrolled: 1-line block ×3, first 2 shown]
	v_mov_b64_e32 v[96:97], v[32:33]
	v_mul_f64 v[32:33], v[242:243], s[28:29]
	v_add_f64 v[26:27], v[26:27], v[28:29]
	v_accvgpr_read_b32 v34, a188
	v_accvgpr_read_b32 v53, a185
	v_add_f64 v[78:79], v[24:25], v[26:27]
	v_add_f64 v[24:25], v[192:193], v[32:33]
	v_accvgpr_read_b32 v32, a192
	v_accvgpr_read_b32 v35, a189
	v_add_f64 v[52:53], v[66:67], v[52:53]
	v_accvgpr_read_b32 v28, a198
	v_accvgpr_read_b32 v33, a193
	v_add_f64 v[34:35], v[70:71], v[34:35]
	v_add_f64 v[52:53], v[2:3], v[52:53]
	v_accvgpr_read_b32 v29, a199
	v_add_f64 v[32:33], v[82:83], v[32:33]
	v_add_f64 v[34:35], v[34:35], v[52:53]
	;; [unrolled: 1-line block ×4, first 2 shown]
	v_accvgpr_write_b32 a177, v111
	v_add_f64 v[26:27], v[152:153], v[166:167]
	v_add_f64 v[28:29], v[28:29], v[32:33]
	v_accvgpr_read_b32 v34, a178
	v_accvgpr_write_b32 a176, v110
	v_accvgpr_write_b32 a175, v109
	;; [unrolled: 1-line block ×3, first 2 shown]
	v_mov_b64_e32 v[108:109], v[40:41]
	v_mov_b64_e32 v[40:41], v[30:31]
	v_mul_f64 v[30:31], v[214:215], s[28:29]
	v_add_f64 v[26:27], v[26:27], v[28:29]
	v_accvgpr_read_b32 v32, a180
	v_accvgpr_read_b32 v35, a179
	v_add_f64 v[70:71], v[24:25], v[26:27]
	v_add_f64 v[24:25], v[30:31], -v[190:191]
	v_accvgpr_read_b32 v30, a182
	v_accvgpr_read_b32 v33, a181
	v_add_f64 v[34:35], v[34:35], -v[62:63]
	v_accvgpr_read_b32 v28, a186
	v_accvgpr_read_b32 v31, a183
	v_add_f64 v[32:33], v[32:33], -v[68:69]
	v_add_f64 v[34:35], v[0:1], v[34:35]
	v_accvgpr_read_b32 v26, a190
	v_accvgpr_read_b32 v29, a187
	v_add_f64 v[30:31], v[30:31], -v[74:75]
	v_add_f64 v[32:33], v[32:33], v[34:35]
	v_accvgpr_read_b32 v27, a191
	v_add_f64 v[28:29], v[28:29], -v[84:85]
	v_add_f64 v[30:31], v[30:31], v[32:33]
	v_add_f64 v[26:27], v[26:27], -v[148:149]
	v_add_f64 v[28:29], v[28:29], v[30:31]
	v_add_f64 v[26:27], v[26:27], v[28:29]
	;; [unrolled: 1-line block ×3, first 2 shown]
	v_accvgpr_read_b32 v24, a194
	v_accvgpr_read_b32 v25, a195
	v_add_f64 v[0:1], v[0:1], v[24:25]
	v_accvgpr_read_b32 v24, a150
	v_add_f64 v[0:1], v[0:1], v[246:247]
	;; [unrolled: 2-line block ×3, first 2 shown]
	v_accvgpr_read_b32 v24, a156
	v_accvgpr_read_b32 v25, a157
	v_add_f64 v[2:3], v[2:3], v[178:179]
	v_add_f64 v[0:1], v[0:1], v[24:25]
	v_accvgpr_read_b32 v24, a158
	v_add_f64 v[2:3], v[2:3], v[180:181]
	v_accvgpr_read_b32 v25, a159
	v_add_f64 v[2:3], v[2:3], v[182:183]
	v_add_f64 v[0:1], v[0:1], v[24:25]
	v_accvgpr_read_b32 v24, a160
	v_add_f64 v[2:3], v[2:3], v[184:185]
	v_accvgpr_read_b32 v25, a161
	v_add_f64 v[2:3], v[2:3], v[186:187]
	v_add_f64 v[0:1], v[0:1], v[24:25]
	;; [unrolled: 1-line block ×10, first 2 shown]
	v_accvgpr_read_b32 v24, a100
	v_add_f64 v[2:3], v[2:3], v[46:47]
	v_add_f64 v[0:1], v[0:1], v[104:105]
	v_mul_u32_u24_e32 v24, 52, v24
	v_accvgpr_read_b32 v25, a31
	v_add_f64 v[2:3], v[2:3], v[42:43]
	v_accvgpr_read_b32 v96, a162
	v_accvgpr_read_b32 v100, a166
	;; [unrolled: 1-line block ×3, first 2 shown]
	v_add_f64 v[0:1], v[0:1], v[108:109]
	v_accvgpr_read_b32 v108, a174
	v_or_b32_e32 v24, v24, v25
	v_add_f64 v[2:3], v[2:3], v[60:61]
	v_accvgpr_read_b32 v97, a163
	v_accvgpr_read_b32 v98, a164
	;; [unrolled: 1-line block ×12, first 2 shown]
	v_lshlrev_b32_e32 v24, 4, v24
	ds_write_b128 v24, v[0:3]
	ds_write_b128 v24, v[68:71] offset:64
	ds_write_b128 v24, v[78:81] offset:128
	;; [unrolled: 1-line block ×12, first 2 shown]
.LBB0_5:
	s_or_b64 exec, exec, s[48:49]
	v_accvgpr_read_b32 v0, a0
	s_movk_i32 s0, 0x4f
	v_accvgpr_read_b32 v2, a128
	v_lshlrev_b32_e32 v64, 4, v0
	v_mul_lo_u16_sdwa v0, v2, s0 dst_sel:DWORD dst_unused:UNUSED_PAD src0_sel:BYTE_0 src1_sel:DWORD
	v_lshrrev_b16_e32 v0, 12, v0
	v_mul_lo_u16_e32 v0, 52, v0
	v_sub_u16_e32 v0, v2, v0
	v_mov_b32_e32 v1, 4
	v_accvgpr_read_b32 v2, a136
	v_lshlrev_b32_sdwa v206, v1, v0 dst_sel:DWORD dst_unused:UNUSED_PAD src0_sel:DWORD src1_sel:BYTE_0
	v_mul_lo_u16_sdwa v0, v2, s0 dst_sel:DWORD dst_unused:UNUSED_PAD src0_sel:BYTE_0 src1_sel:DWORD
	v_lshrrev_b16_e32 v0, 12, v0
	v_mul_lo_u16_e32 v0, 52, v0
	s_movk_i32 s0, 0x4ec5
	v_accvgpr_read_b32 v220, a116
	v_sub_u16_e32 v0, v2, v0
	v_mul_u32_u24_sdwa v11, v220, s0 dst_sel:DWORD dst_unused:UNUSED_PAD src0_sel:WORD_0 src1_sel:DWORD
	v_lshlrev_b32_sdwa v207, v1, v0 dst_sel:DWORD dst_unused:UNUSED_PAD src0_sel:DWORD src1_sel:BYTE_0
	v_lshrrev_b32_e32 v0, 20, v11
	v_mul_lo_u16_e32 v0, 52, v0
	v_accvgpr_read_b32 v222, a118
	v_sub_u16_e32 v0, v220, v0
	v_mul_u32_u24_sdwa v10, v222, s0 dst_sel:DWORD dst_unused:UNUSED_PAD src0_sel:WORD_0 src1_sel:DWORD
	v_lshlrev_b32_e32 v208, 4, v0
	v_lshrrev_b32_e32 v0, 20, v10
	v_mul_lo_u16_e32 v0, 52, v0
	v_accvgpr_read_b32 v224, a122
	v_sub_u16_e32 v0, v222, v0
	v_mul_u32_u24_sdwa v9, v224, s0 dst_sel:DWORD dst_unused:UNUSED_PAD src0_sel:WORD_0 src1_sel:DWORD
	v_lshlrev_b32_e32 v209, 4, v0
	;; [unrolled: 6-line block ×3, first 2 shown]
	v_lshrrev_b32_e32 v0, 20, v8
	v_mul_lo_u16_e32 v0, 52, v0
	v_sub_u16_e32 v0, v232, v0
	v_accvgpr_read_b32 v2, a148
	v_lshlrev_b32_e32 v211, 4, v0
	v_mul_u32_u24_sdwa v0, v2, s0 dst_sel:DWORD dst_unused:UNUSED_PAD src0_sel:WORD_0 src1_sel:DWORD
	v_lshrrev_b32_e32 v0, 20, v0
	v_mul_lo_u16_e32 v0, 52, v0
	v_sub_u16_e32 v0, v2, v0
	v_accvgpr_read_b32 v2, a142
	v_lshlrev_b32_e32 v213, 4, v0
	v_mul_u32_u24_sdwa v0, v2, s0 dst_sel:DWORD dst_unused:UNUSED_PAD src0_sel:WORD_0 src1_sel:DWORD
	v_lshrrev_b32_e32 v0, 20, v0
	s_waitcnt lgkmcnt(0)
	; wave barrier
	s_waitcnt lgkmcnt(0)
	global_load_dwordx4 v[148:151], v64, s[10:11] offset:800
	global_load_dwordx4 v[170:173], v206, s[10:11] offset:800
	v_mul_lo_u16_e32 v0, 52, v0
	v_sub_u16_e32 v0, v2, v0
	v_accvgpr_read_b32 v2, a140
	v_lshlrev_b32_e32 v212, 4, v0
	v_mul_u32_u24_sdwa v0, v2, s0 dst_sel:DWORD dst_unused:UNUSED_PAD src0_sel:WORD_0 src1_sel:DWORD
	global_load_dwordx4 v[174:177], v207, s[10:11] offset:800
	global_load_dwordx4 v[178:181], v208, s[10:11] offset:800
	v_lshrrev_b32_e32 v0, 20, v0
	v_mul_lo_u16_e32 v0, 52, v0
	global_load_dwordx4 v[182:185], v209, s[10:11] offset:800
	global_load_dwordx4 v[186:189], v210, s[10:11] offset:800
	v_sub_u16_e32 v0, v2, v0
	v_accvgpr_read_b32 v2, a138
	v_lshlrev_b32_e32 v214, 4, v0
	v_mul_u32_u24_sdwa v0, v2, s0 dst_sel:DWORD dst_unused:UNUSED_PAD src0_sel:WORD_0 src1_sel:DWORD
	global_load_dwordx4 v[190:193], v211, s[10:11] offset:800
	global_load_dwordx4 v[198:201], v212, s[10:11] offset:800
	v_lshrrev_b32_e32 v0, 20, v0
	global_load_dwordx4 v[194:197], v213, s[10:11] offset:800
	global_load_dwordx4 v[202:205], v214, s[10:11] offset:800
	v_mul_lo_u16_e32 v0, 52, v0
	v_sub_u16_e32 v0, v2, v0
	v_lshlrev_b32_e32 v215, 4, v0
	global_load_dwordx4 v[216:219], v215, s[10:11] offset:800
	ds_read_b128 v[12:15], v248
	ds_read_b128 v[16:19], v248 offset:9984
	ds_read_b128 v[20:23], v248 offset:832
	ds_read_b128 v[24:27], v248 offset:10816
	ds_read_b128 v[28:31], v248 offset:1664
	ds_read_b128 v[32:35], v248 offset:11648
	ds_read_b128 v[36:39], v248 offset:2496
	ds_read_b128 v[40:43], v248 offset:12480
	ds_read_b128 v[44:47], v248 offset:3328
	ds_read_b128 v[48:51], v248 offset:13312
	ds_read_b128 v[52:55], v248 offset:4160
	ds_read_b128 v[56:59], v248 offset:14144
	ds_read_b128 v[60:63], v248 offset:4992
	ds_read_b128 v[66:69], v248 offset:14976
	ds_read_b128 v[70:73], v248 offset:5824
	ds_read_b128 v[74:77], v248 offset:15808
	ds_read_b128 v[78:81], v248 offset:6656
	ds_read_b128 v[82:85], v248 offset:16640
	ds_read_b128 v[86:89], v248 offset:7488
	ds_read_b128 v[90:93], v248 offset:17472
	ds_read_b128 v[4:7], v248 offset:8320
	ds_read_b128 v[152:155], v248 offset:18304
	ds_read_b128 v[0:3], v248 offset:9152
	ds_read_b128 v[156:159], v248 offset:19136
	s_waitcnt lgkmcnt(0)
	; wave barrier
	s_waitcnt lgkmcnt(0)
	v_accvgpr_write_b32 a115, v208
	v_accvgpr_write_b32 a116, v209
	;; [unrolled: 1-line block ×10, first 2 shown]
	s_mov_b32 s0, 0xe8584caa
	s_mov_b32 s1, 0x3febb67a
	;; [unrolled: 1-line block ×4, first 2 shown]
	s_add_u32 s8, s8, 0x4e00
	s_addc_u32 s9, s9, 0
	s_waitcnt vmcnt(10)
	v_mul_f64 v[94:95], v[18:19], v[150:151]
	v_fma_f64 v[94:95], v[16:17], v[148:149], -v[94:95]
	v_mul_f64 v[160:161], v[16:17], v[150:151]
	v_mul_f64 v[16:17], v[26:27], v[150:151]
	v_fma_f64 v[162:163], v[24:25], v[148:149], -v[16:17]
	s_waitcnt vmcnt(9)
	v_mul_f64 v[16:17], v[34:35], v[172:173]
	v_fma_f64 v[166:167], v[32:33], v[170:171], -v[16:17]
	v_mul_f64 v[168:169], v[32:33], v[172:173]
	v_accvgpr_write_b32 a136, v170
	s_waitcnt vmcnt(8)
	v_mul_f64 v[16:17], v[42:43], v[176:177]
	v_accvgpr_write_b32 a137, v171
	v_accvgpr_write_b32 a138, v172
	v_accvgpr_write_b32 a139, v173
	v_fmac_f64_e32 v[168:169], v[34:35], v[170:171]
	v_fma_f64 v[170:171], v[40:41], v[174:175], -v[16:17]
	v_mul_f64 v[172:173], v[40:41], v[176:177]
	v_accvgpr_write_b32 a140, v174
	s_waitcnt vmcnt(7)
	v_mul_f64 v[16:17], v[50:51], v[180:181]
	v_accvgpr_write_b32 a141, v175
	v_accvgpr_write_b32 a142, v176
	v_accvgpr_write_b32 a143, v177
	v_fmac_f64_e32 v[172:173], v[42:43], v[174:175]
	;; [unrolled: 9-line block ×6, first 2 shown]
	v_fma_f64 v[190:191], v[82:83], v[194:195], -v[16:17]
	v_mul_f64 v[192:193], v[82:83], v[196:197]
	v_accvgpr_write_b32 a168, v194
	v_mul_f64 v[16:17], v[92:93], v[200:201]
	v_accvgpr_write_b32 a169, v195
	v_accvgpr_write_b32 a170, v196
	;; [unrolled: 1-line block ×3, first 2 shown]
	v_fmac_f64_e32 v[192:193], v[84:85], v[194:195]
	v_fma_f64 v[194:195], v[90:91], v[198:199], -v[16:17]
	v_mul_f64 v[196:197], v[90:91], v[200:201]
	v_accvgpr_write_b32 a172, v198
	s_waitcnt vmcnt(1)
	v_mul_f64 v[16:17], v[154:155], v[204:205]
	v_accvgpr_write_b32 a173, v199
	v_accvgpr_write_b32 a174, v200
	;; [unrolled: 1-line block ×3, first 2 shown]
	v_fmac_f64_e32 v[196:197], v[92:93], v[198:199]
	v_fma_f64 v[198:199], v[152:153], v[202:203], -v[16:17]
	v_mul_f64 v[200:201], v[152:153], v[204:205]
	v_accvgpr_write_b32 a176, v202
	s_waitcnt vmcnt(0)
	v_mul_f64 v[16:17], v[158:159], v[218:219]
	v_fmac_f64_e32 v[160:161], v[18:19], v[148:149]
	v_mul_f64 v[164:165], v[24:25], v[150:151]
	v_accvgpr_write_b32 a177, v203
	v_accvgpr_write_b32 a178, v204
	;; [unrolled: 1-line block ×3, first 2 shown]
	v_fmac_f64_e32 v[200:201], v[154:155], v[202:203]
	v_fma_f64 v[202:203], v[156:157], v[216:217], -v[16:17]
	v_mul_f64 v[204:205], v[156:157], v[218:219]
	v_fmac_f64_e32 v[164:165], v[26:27], v[148:149]
	v_fmac_f64_e32 v[204:205], v[158:159], v[216:217]
	v_add_f64 v[16:17], v[12:13], -v[94:95]
	v_add_f64 v[18:19], v[14:15], -v[160:161]
	;; [unrolled: 1-line block ×3, first 2 shown]
	v_fma_f64 v[12:13], v[12:13], 2.0, -v[16:17]
	v_fma_f64 v[14:15], v[14:15], 2.0, -v[18:19]
	v_add_f64 v[24:25], v[20:21], -v[162:163]
	v_add_f64 v[26:27], v[22:23], -v[164:165]
	;; [unrolled: 1-line block ×21, first 2 shown]
	v_fma_f64 v[0:1], v[0:1], 2.0, -v[156:157]
	v_fma_f64 v[20:21], v[20:21], 2.0, -v[24:25]
	;; [unrolled: 1-line block ×22, first 2 shown]
	ds_write_b128 v248, v[12:15]
	ds_write_b128 v248, v[16:19] offset:832
	ds_write_b128 v248, v[20:23] offset:1664
	;; [unrolled: 1-line block ×22, first 2 shown]
	v_accvgpr_read_b32 v0, a135
	v_lshlrev_b32_e32 v0, 4, v0
	ds_write_b128 v215, v[156:159] offset:19136
	s_waitcnt lgkmcnt(0)
	; wave barrier
	s_waitcnt lgkmcnt(0)
	global_load_dwordx4 v[208:211], v0, s[10:11] offset:1632
	global_load_dwordx4 v[200:203], v0, s[10:11] offset:1648
	v_lshrrev_b32_e32 v0, 21, v11
	v_mul_lo_u16_e32 v0, 0x68, v0
	v_sub_u16_e32 v86, v220, v0
	v_lshlrev_b16_e32 v0, 5, v86
	v_mov_b32_e32 v1, v65
	v_accvgpr_read_b32 v14, a133
	v_lshl_add_u64 v[0:1], s[10:11], 0, v[0:1]
	global_load_dwordx4 v[212:215], v14, s[10:11] offset:1632
	global_load_dwordx4 v[204:207], v14, s[10:11] offset:1648
	ds_read_b128 v[16:19], v248
	global_load_dwordx4 v[194:197], v[0:1], off offset:1632
	global_load_dwordx4 v[190:193], v[0:1], off offset:1648
	v_lshrrev_b32_e32 v0, 21, v10
	v_mul_lo_u16_e32 v0, 0x68, v0
	v_sub_u16_e32 v87, v222, v0
	v_lshlrev_b16_e32 v0, 5, v87
	v_mov_b32_e32 v1, v65
	v_accvgpr_write_b32 a180, v216
	v_lshl_add_u64 v[0:1], s[10:11], 0, v[0:1]
	v_accvgpr_write_b32 a181, v217
	v_accvgpr_write_b32 a182, v218
	;; [unrolled: 1-line block ×3, first 2 shown]
	global_load_dwordx4 v[220:223], v[0:1], off offset:1632
	global_load_dwordx4 v[216:219], v[0:1], off offset:1648
	v_lshrrev_b32_e32 v0, 21, v9
	v_mul_lo_u16_e32 v0, 0x68, v0
	v_sub_u16_e32 v88, v224, v0
	v_lshlrev_b16_e32 v0, 5, v88
	v_mov_b32_e32 v1, v65
	v_lshl_add_u64 v[0:1], s[10:11], 0, v[0:1]
	global_load_dwordx4 v[228:231], v[0:1], off offset:1632
	global_load_dwordx4 v[224:227], v[0:1], off offset:1648
	v_lshrrev_b32_e32 v0, 21, v8
	v_mul_lo_u16_e32 v0, 0x68, v0
	v_sub_u16_e32 v89, v232, v0
	v_lshlrev_b16_e32 v0, 5, v89
	v_mov_b32_e32 v1, v65
	v_lshl_add_u64 v[0:1], s[10:11], 0, v[0:1]
	global_load_dwordx4 v[232:235], v[0:1], off offset:1632
	ds_read_b128 v[44:47], v248 offset:6656
	ds_read_b128 v[48:51], v248 offset:13312
	;; [unrolled: 1-line block ×3, first 2 shown]
	global_load_dwordx4 v[236:239], v[0:1], off offset:1648
	ds_read_b128 v[52:55], v248 offset:7488
	ds_read_b128 v[56:59], v248 offset:14144
	;; [unrolled: 1-line block ×19, first 2 shown]
	s_waitcnt vmcnt(11) lgkmcnt(14)
	v_mul_f64 v[0:1], v[46:47], v[210:211]
	v_fma_f64 v[0:1], v[44:45], v[208:209], -v[0:1]
	v_mul_f64 v[2:3], v[44:45], v[210:211]
	v_mul_f64 v[176:177], v[60:61], v[210:211]
	v_fmac_f64_e32 v[176:177], v[62:63], v[208:209]
	s_waitcnt vmcnt(10)
	v_mul_f64 v[4:5], v[50:51], v[202:203]
	v_fma_f64 v[4:5], v[48:49], v[200:201], -v[4:5]
	v_mul_f64 v[6:7], v[48:49], v[202:203]
	s_waitcnt vmcnt(9) lgkmcnt(12)
	v_mul_f64 v[184:185], v[70:71], v[214:215]
	s_waitcnt vmcnt(8)
	v_mul_f64 v[44:45], v[58:59], v[206:207]
	v_fma_f64 v[94:95], v[56:57], v[204:205], -v[44:45]
	v_mul_f64 v[44:45], v[62:63], v[210:211]
	v_fma_f64 v[174:175], v[60:61], v[208:209], -v[44:45]
	;; [unrolled: 2-line block ×4, first 2 shown]
	s_waitcnt lgkmcnt(11)
	v_mul_f64 v[44:45], v[76:77], v[206:207]
	v_fma_f64 v[186:187], v[74:75], v[204:205], -v[44:45]
	s_waitcnt vmcnt(7) lgkmcnt(9)
	v_mul_f64 v[44:45], v[80:81], v[196:197]
	v_fma_f64 v[70:71], v[78:79], v[194:195], -v[44:45]
	s_waitcnt vmcnt(6) lgkmcnt(8)
	v_mul_f64 v[44:45], v[84:85], v[192:193]
	v_mul_f64 v[188:189], v[74:75], v[206:207]
	v_fma_f64 v[74:75], v[82:83], v[190:191], -v[44:45]
	s_waitcnt vmcnt(5) lgkmcnt(6)
	v_mul_f64 v[44:45], v[92:93], v[222:223]
	v_fma_f64 v[60:61], v[90:91], v[220:221], -v[44:45]
	s_waitcnt vmcnt(4) lgkmcnt(5)
	v_mul_f64 v[44:45], v[154:155], v[218:219]
	v_mul_f64 v[8:9], v[54:55], v[214:215]
	v_fma_f64 v[62:63], v[152:153], v[216:217], -v[44:45]
	s_waitcnt vmcnt(3) lgkmcnt(3)
	v_mul_f64 v[44:45], v[158:159], v[230:231]
	v_fma_f64 v[8:9], v[52:53], v[212:213], -v[8:9]
	v_mul_f64 v[10:11], v[52:53], v[214:215]
	v_fma_f64 v[52:53], v[156:157], v[228:229], -v[44:45]
	s_waitcnt vmcnt(2) lgkmcnt(2)
	v_mul_f64 v[44:45], v[162:163], v[226:227]
	v_mul_f64 v[172:173], v[56:57], v[206:207]
	v_fma_f64 v[56:57], v[160:161], v[224:225], -v[44:45]
	s_waitcnt vmcnt(1) lgkmcnt(1)
	v_mul_f64 v[44:45], v[166:167], v[234:235]
	v_fmac_f64_e32 v[2:3], v[46:47], v[208:209]
	v_fmac_f64_e32 v[6:7], v[50:51], v[200:201]
	;; [unrolled: 1-line block ×3, first 2 shown]
	v_fma_f64 v[76:77], v[164:165], v[232:233], -v[44:45]
	s_waitcnt vmcnt(0) lgkmcnt(0)
	v_mul_f64 v[44:45], v[170:171], v[238:239]
	v_add_f64 v[46:47], v[0:1], v[4:5]
	v_fmac_f64_e32 v[184:185], v[72:73], v[212:213]
	v_mul_f64 v[72:73], v[78:79], v[196:197]
	v_mul_f64 v[78:79], v[82:83], v[192:193]
	v_fma_f64 v[82:83], v[168:169], v[236:237], -v[44:45]
	v_add_f64 v[44:45], v[16:17], v[0:1]
	v_fmac_f64_e32 v[16:17], -0.5, v[46:47]
	v_add_f64 v[46:47], v[2:3], -v[6:7]
	v_fma_f64 v[48:49], s[0:1], v[46:47], v[16:17]
	v_fmac_f64_e32 v[16:17], s[12:13], v[46:47]
	v_add_f64 v[46:47], v[18:19], v[2:3]
	v_add_f64 v[2:3], v[2:3], v[6:7]
	v_fmac_f64_e32 v[18:19], -0.5, v[2:3]
	v_add_f64 v[0:1], v[0:1], -v[4:5]
	v_fma_f64 v[50:51], s[12:13], v[0:1], v[18:19]
	v_fmac_f64_e32 v[18:19], s[0:1], v[0:1]
	v_add_f64 v[0:1], v[40:41], v[8:9]
	v_fmac_f64_e32 v[10:11], v[54:55], v[212:213]
	v_fmac_f64_e32 v[172:173], v[58:59], v[204:205]
	v_mul_f64 v[180:181], v[66:67], v[202:203]
	v_mul_f64 v[66:67], v[90:91], v[222:223]
	v_add_f64 v[90:91], v[0:1], v[94:95]
	v_add_f64 v[0:1], v[8:9], v[94:95]
	v_fmac_f64_e32 v[40:41], -0.5, v[0:1]
	v_add_f64 v[0:1], v[10:11], -v[172:173]
	v_fmac_f64_e32 v[180:181], v[68:69], v[200:201]
	v_mul_f64 v[68:69], v[152:153], v[218:219]
	v_fma_f64 v[152:153], s[0:1], v[0:1], v[40:41]
	v_fmac_f64_e32 v[40:41], s[12:13], v[0:1]
	v_add_f64 v[0:1], v[42:43], v[10:11]
	v_fmac_f64_e32 v[66:67], v[92:93], v[220:221]
	v_add_f64 v[92:93], v[0:1], v[172:173]
	v_add_f64 v[0:1], v[10:11], v[172:173]
	v_fmac_f64_e32 v[42:43], -0.5, v[0:1]
	v_add_f64 v[0:1], v[8:9], -v[94:95]
	v_fmac_f64_e32 v[68:69], v[154:155], v[216:217]
	v_fma_f64 v[154:155], s[12:13], v[0:1], v[42:43]
	v_fmac_f64_e32 v[42:43], s[0:1], v[0:1]
	v_add_f64 v[0:1], v[36:37], v[174:175]
	v_mul_f64 v[54:55], v[156:157], v[230:231]
	v_add_f64 v[156:157], v[0:1], v[178:179]
	v_add_f64 v[0:1], v[174:175], v[178:179]
	v_fmac_f64_e32 v[36:37], -0.5, v[0:1]
	v_add_f64 v[0:1], v[176:177], -v[180:181]
	v_mul_f64 v[58:59], v[160:161], v[226:227]
	v_fma_f64 v[160:161], s[0:1], v[0:1], v[36:37]
	v_fmac_f64_e32 v[36:37], s[12:13], v[0:1]
	v_add_f64 v[0:1], v[38:39], v[176:177]
	v_fmac_f64_e32 v[54:55], v[158:159], v[228:229]
	v_add_f64 v[158:159], v[0:1], v[180:181]
	v_add_f64 v[0:1], v[176:177], v[180:181]
	v_fmac_f64_e32 v[38:39], -0.5, v[0:1]
	v_add_f64 v[0:1], v[174:175], -v[178:179]
	v_fmac_f64_e32 v[58:59], v[162:163], v[224:225]
	v_fma_f64 v[162:163], s[12:13], v[0:1], v[38:39]
	v_fmac_f64_e32 v[38:39], s[0:1], v[0:1]
	v_add_f64 v[0:1], v[32:33], v[182:183]
	v_fmac_f64_e32 v[72:73], v[80:81], v[194:195]
	v_mul_f64 v[80:81], v[164:165], v[234:235]
	v_add_f64 v[164:165], v[0:1], v[186:187]
	v_add_f64 v[0:1], v[182:183], v[186:187]
	v_fmac_f64_e32 v[32:33], -0.5, v[0:1]
	v_add_f64 v[0:1], v[184:185], -v[188:189]
	v_fmac_f64_e32 v[78:79], v[84:85], v[190:191]
	v_mul_f64 v[84:85], v[168:169], v[238:239]
	v_fma_f64 v[168:169], s[0:1], v[0:1], v[32:33]
	v_fmac_f64_e32 v[32:33], s[12:13], v[0:1]
	v_add_f64 v[0:1], v[34:35], v[184:185]
	v_fmac_f64_e32 v[80:81], v[166:167], v[232:233]
	v_add_f64 v[166:167], v[0:1], v[188:189]
	v_add_f64 v[0:1], v[184:185], v[188:189]
	v_fmac_f64_e32 v[34:35], -0.5, v[0:1]
	v_add_f64 v[0:1], v[182:183], -v[186:187]
	v_fmac_f64_e32 v[84:85], v[170:171], v[236:237]
	v_fma_f64 v[170:171], s[12:13], v[0:1], v[34:35]
	v_fmac_f64_e32 v[34:35], s[0:1], v[0:1]
	v_add_f64 v[0:1], v[28:29], v[70:71]
	v_add_f64 v[172:173], v[0:1], v[74:75]
	v_add_f64 v[0:1], v[70:71], v[74:75]
	v_fmac_f64_e32 v[28:29], -0.5, v[0:1]
	v_add_f64 v[0:1], v[72:73], -v[78:79]
	v_fma_f64 v[176:177], s[0:1], v[0:1], v[28:29]
	v_fmac_f64_e32 v[28:29], s[12:13], v[0:1]
	v_add_f64 v[0:1], v[30:31], v[72:73]
	v_add_f64 v[174:175], v[0:1], v[78:79]
	v_add_f64 v[0:1], v[72:73], v[78:79]
	v_fmac_f64_e32 v[30:31], -0.5, v[0:1]
	v_add_f64 v[0:1], v[70:71], -v[74:75]
	;; [unrolled: 7-line block ×4, first 2 shown]
	v_fma_f64 v[182:183], s[12:13], v[0:1], v[26:27]
	v_fmac_f64_e32 v[26:27], s[0:1], v[0:1]
	v_add_f64 v[0:1], v[20:21], v[52:53]
	v_add_f64 v[60:61], v[0:1], v[56:57]
	;; [unrolled: 1-line block ×3, first 2 shown]
	ds_read_b128 v[184:187], v248 offset:5824
	v_fmac_f64_e32 v[20:21], -0.5, v[0:1]
	v_add_f64 v[0:1], v[54:55], -v[58:59]
	v_fma_f64 v[66:67], s[0:1], v[0:1], v[20:21]
	v_fmac_f64_e32 v[20:21], s[12:13], v[0:1]
	v_add_f64 v[0:1], v[22:23], v[54:55]
	v_add_f64 v[62:63], v[0:1], v[58:59]
	;; [unrolled: 1-line block ×3, first 2 shown]
	v_fmac_f64_e32 v[22:23], -0.5, v[0:1]
	v_add_f64 v[0:1], v[52:53], -v[56:57]
	v_fma_f64 v[68:69], s[12:13], v[0:1], v[22:23]
	v_fmac_f64_e32 v[22:23], s[0:1], v[0:1]
	s_waitcnt lgkmcnt(0)
	v_add_f64 v[0:1], v[184:185], v[76:77]
	v_accvgpr_write_b32 a184, v190
	v_add_f64 v[188:189], v[0:1], v[82:83]
	v_add_f64 v[0:1], v[186:187], v[80:81]
	v_accvgpr_write_b32 a185, v191
	v_accvgpr_write_b32 a186, v192
	;; [unrolled: 1-line block ×3, first 2 shown]
	v_add_f64 v[190:191], v[0:1], v[84:85]
	v_add_f64 v[0:1], v[80:81], v[84:85]
	v_fmac_f64_e32 v[186:187], -0.5, v[0:1]
	v_add_f64 v[0:1], v[76:77], -v[82:83]
	v_add_f64 v[44:45], v[44:45], v[4:5]
	v_add_f64 v[46:47], v[46:47], v[6:7]
	v_fma_f64 v[56:57], s[12:13], v[0:1], v[186:187]
	v_fmac_f64_e32 v[186:187], s[0:1], v[0:1]
	v_lshlrev_b32_e32 v0, 4, v86
	v_add_f64 v[2:3], v[76:77], v[82:83]
	s_waitcnt lgkmcnt(0)
	; wave barrier
	ds_write_b128 v248, v[44:47]
	ds_write_b128 v248, v[48:51] offset:1664
	ds_write_b128 v248, v[16:19] offset:3328
	ds_write_b128 v248, v[90:93] offset:832
	ds_write_b128 v248, v[152:155] offset:2496
	ds_write_b128 v248, v[40:43] offset:4160
	ds_write_b128 v248, v[156:159] offset:4992
	ds_write_b128 v248, v[160:163] offset:6656
	ds_write_b128 v248, v[36:39] offset:8320
	ds_write_b128 v248, v[164:167] offset:5824
	ds_write_b128 v248, v[168:171] offset:7488
	ds_write_b128 v248, v[32:35] offset:9152
	ds_write_b128 v0, v[172:175] offset:9984
	ds_write_b128 v0, v[176:179] offset:11648
	v_accvgpr_write_b32 a133, v0
	ds_write_b128 v0, v[28:31] offset:13312
	v_lshlrev_b32_e32 v0, 4, v87
	v_fmac_f64_e32 v[184:185], -0.5, v[2:3]
	v_add_f64 v[2:3], v[80:81], -v[84:85]
	ds_write_b128 v0, v[70:73] offset:9984
	ds_write_b128 v0, v[180:183] offset:11648
	v_accvgpr_write_b32 a135, v0
	ds_write_b128 v0, v[24:27] offset:13312
	v_lshlrev_b32_e32 v0, 4, v88
	v_fma_f64 v[54:55], s[0:1], v[2:3], v[184:185]
	v_fmac_f64_e32 v[184:185], s[12:13], v[2:3]
	v_lshl_add_u64 v[52:53], s[10:11], 0, v[64:65]
	ds_write_b128 v0, v[60:63] offset:14976
	ds_write_b128 v0, v[66:69] offset:16640
	v_accvgpr_write_b32 a192, v0
	ds_write_b128 v0, v[20:23] offset:18304
	v_lshlrev_b32_e32 v0, 4, v89
	s_movk_i32 s10, 0x1000
	ds_write_b128 v0, v[188:191] offset:14976
	ds_write_b128 v0, v[54:57] offset:16640
	v_accvgpr_write_b32 a193, v0
	ds_write_b128 v0, v[184:187] offset:18304
	v_add_co_u32_e64 v0, s[0:1], s10, v52
	v_accvgpr_write_b32 a206, v228
	v_accvgpr_write_b32 a202, v224
	v_accvgpr_write_b32 a210, v232
	v_addc_co_u32_e64 v1, s[0:1], 0, v53, s[0:1]
	s_movk_i32 s11, 0x2000
	v_accvgpr_write_b32 a207, v229
	v_accvgpr_write_b32 a208, v230
	;; [unrolled: 1-line block ×9, first 2 shown]
	s_waitcnt lgkmcnt(0)
	; wave barrier
	s_waitcnt lgkmcnt(0)
	global_load_dwordx4 v[224:227], v[0:1], off offset:864
	global_load_dwordx4 v[232:235], v[0:1], off offset:1696
	;; [unrolled: 1-line block ×4, first 2 shown]
	v_add_co_u32_e64 v24, s[0:1], s11, v52
	s_movk_i32 s13, 0x3000
	s_nop 0
	v_addc_co_u32_e64 v25, s[0:1], 0, v53, s[0:1]
	global_load_dwordx4 v[244:247], v[24:25], off offset:96
	global_load_dwordx4 v[252:255], v[24:25], off offset:928
	ds_read_b128 v[16:19], v248
	ds_read_b128 v[20:23], v248 offset:9984
	ds_read_b128 v[26:29], v248 offset:832
	;; [unrolled: 1-line block ×17, first 2 shown]
	s_movk_i32 s12, 0x4000
	v_accvgpr_write_b32 a188, v194
	v_accvgpr_write_b32 a189, v195
	;; [unrolled: 1-line block ×16, first 2 shown]
	s_waitcnt vmcnt(5) lgkmcnt(14)
	v_mul_f64 v[0:1], v[22:23], v[226:227]
	v_fma_f64 v[0:1], v[20:21], v[224:225], -v[0:1]
	v_mul_f64 v[2:3], v[20:21], v[226:227]
	s_waitcnt vmcnt(2) lgkmcnt(10)
	v_mul_f64 v[20:21], v[48:49], v[242:243]
	v_fma_f64 v[50:51], v[46:47], v[240:241], -v[20:21]
	s_waitcnt lgkmcnt(5)
	v_mul_f64 v[164:165], v[74:75], v[226:227]
	s_waitcnt lgkmcnt(3)
	v_mul_f64 v[172:173], v[82:83], v[230:231]
	v_fmac_f64_e32 v[164:165], v[76:77], v[224:225]
	s_waitcnt vmcnt(1)
	v_mul_f64 v[20:21], v[60:61], v[246:247]
	v_fma_f64 v[94:95], v[58:59], v[244:245], -v[20:21]
	s_waitcnt vmcnt(0)
	v_mul_f64 v[20:21], v[72:73], v[254:255]
	v_fma_f64 v[158:159], v[70:71], v[252:253], -v[20:21]
	v_mul_f64 v[20:21], v[76:77], v[226:227]
	v_fma_f64 v[162:163], v[74:75], v[224:225], -v[20:21]
	;; [unrolled: 2-line block ×3, first 2 shown]
	v_mul_f64 v[20:21], v[84:85], v[230:231]
	v_mul_f64 v[156:157], v[58:59], v[246:247]
	v_fma_f64 v[170:171], v[82:83], v[228:229], -v[20:21]
	s_waitcnt lgkmcnt(2)
	v_mul_f64 v[20:21], v[88:89], v[242:243]
	v_fmac_f64_e32 v[156:157], v[60:61], v[244:245]
	v_fma_f64 v[174:175], v[86:87], v[240:241], -v[20:21]
	s_waitcnt lgkmcnt(1)
	v_mul_f64 v[20:21], v[92:93], v[246:247]
	v_mul_f64 v[180:181], v[90:91], v[246:247]
	;; [unrolled: 1-line block ×3, first 2 shown]
	v_fmac_f64_e32 v[172:173], v[84:85], v[228:229]
	v_fma_f64 v[178:179], v[90:91], v[244:245], -v[20:21]
	v_fmac_f64_e32 v[180:181], v[92:93], v[244:245]
	v_add_f64 v[60:61], v[56:57], -v[156:157]
	v_add_f64 v[70:71], v[66:67], -v[158:159]
	ds_read_b128 v[74:77], v248 offset:4992
	ds_read_b128 v[82:85], v248 offset:5824
	ds_read_b128 v[90:93], v248 offset:6656
	ds_read_b128 v[156:159], v248 offset:7488
	v_fmac_f64_e32 v[160:161], v[72:73], v[252:253]
	v_mul_f64 v[168:169], v[78:79], v[234:235]
	s_waitcnt lgkmcnt(4)
	v_mul_f64 v[184:185], v[152:153], v[254:255]
	v_fmac_f64_e32 v[168:169], v[80:81], v[232:233]
	v_mul_f64 v[176:177], v[86:87], v[242:243]
	v_mul_f64 v[20:21], v[154:155], v[254:255]
	v_fmac_f64_e32 v[184:185], v[154:155], v[252:253]
	v_add_f64 v[72:73], v[68:69], -v[160:161]
	s_waitcnt lgkmcnt(3)
	v_add_f64 v[80:81], v[76:77], -v[164:165]
	s_waitcnt lgkmcnt(2)
	;; [unrolled: 2-line block ×4, first 2 shown]
	v_add_f64 v[160:161], v[156:157], -v[174:175]
	ds_read_b128 v[164:167], v248 offset:8320
	ds_read_b128 v[172:175], v248 offset:9152
	v_fmac_f64_e32 v[2:3], v[22:23], v[224:225]
	v_mul_f64 v[4:5], v[32:33], v[234:235]
	v_mul_f64 v[6:7], v[30:31], v[234:235]
	;; [unrolled: 1-line block ×5, first 2 shown]
	v_fma_f64 v[4:5], v[30:31], v[232:233], -v[4:5]
	v_fmac_f64_e32 v[6:7], v[32:33], v[232:233]
	v_fma_f64 v[8:9], v[38:39], v[228:229], -v[8:9]
	v_fmac_f64_e32 v[10:11], v[40:41], v[228:229]
	v_fmac_f64_e32 v[62:63], v[48:49], v[240:241]
	;; [unrolled: 1-line block ×3, first 2 shown]
	v_fma_f64 v[182:183], v[152:153], v[252:253], -v[20:21]
	v_add_f64 v[20:21], v[16:17], -v[0:1]
	v_add_f64 v[22:23], v[18:19], -v[2:3]
	v_fma_f64 v[16:17], v[16:17], 2.0, -v[20:21]
	v_fma_f64 v[18:19], v[18:19], 2.0, -v[22:23]
	v_add_f64 v[30:31], v[26:27], -v[4:5]
	v_add_f64 v[32:33], v[28:29], -v[6:7]
	;; [unrolled: 1-line block ×11, first 2 shown]
	s_waitcnt lgkmcnt(1)
	v_add_f64 v[168:169], v[164:165], -v[178:179]
	v_add_f64 v[170:171], v[166:167], -v[180:181]
	s_waitcnt lgkmcnt(0)
	v_add_f64 v[176:177], v[172:173], -v[182:183]
	v_add_f64 v[178:179], v[174:175], -v[184:185]
	v_fma_f64 v[26:27], v[26:27], 2.0, -v[30:31]
	v_fma_f64 v[28:29], v[28:29], 2.0, -v[32:33]
	v_fma_f64 v[34:35], v[34:35], 2.0, -v[38:39]
	v_fma_f64 v[36:37], v[36:37], 2.0, -v[40:41]
	v_fma_f64 v[42:43], v[42:43], 2.0, -v[46:47]
	v_fma_f64 v[44:45], v[44:45], 2.0, -v[48:49]
	v_fma_f64 v[54:55], v[54:55], 2.0, -v[58:59]
	v_fma_f64 v[56:57], v[56:57], 2.0, -v[60:61]
	v_fma_f64 v[66:67], v[66:67], 2.0, -v[70:71]
	v_fma_f64 v[68:69], v[68:69], 2.0, -v[72:73]
	v_fma_f64 v[74:75], v[74:75], 2.0, -v[78:79]
	v_fma_f64 v[76:77], v[76:77], 2.0, -v[80:81]
	v_fma_f64 v[82:83], v[82:83], 2.0, -v[86:87]
	v_fma_f64 v[84:85], v[84:85], 2.0, -v[88:89]
	v_fma_f64 v[90:91], v[90:91], 2.0, -v[152:153]
	v_fma_f64 v[92:93], v[92:93], 2.0, -v[154:155]
	v_fma_f64 v[156:157], v[156:157], 2.0, -v[160:161]
	v_fma_f64 v[158:159], v[158:159], 2.0, -v[162:163]
	v_fma_f64 v[164:165], v[164:165], 2.0, -v[168:169]
	v_fma_f64 v[166:167], v[166:167], 2.0, -v[170:171]
	v_fma_f64 v[172:173], v[172:173], 2.0, -v[176:177]
	v_fma_f64 v[174:175], v[174:175], 2.0, -v[178:179]
	s_waitcnt lgkmcnt(0)
	; wave barrier
	ds_write_b128 v248, v[16:19]
	ds_write_b128 v248, v[20:23] offset:4992
	ds_write_b128 v248, v[26:29] offset:832
	ds_write_b128 v248, v[30:33] offset:5824
	ds_write_b128 v248, v[34:37] offset:1664
	ds_write_b128 v248, v[38:41] offset:6656
	ds_write_b128 v248, v[42:45] offset:2496
	ds_write_b128 v248, v[46:49] offset:7488
	ds_write_b128 v248, v[54:57] offset:3328
	ds_write_b128 v248, v[58:61] offset:8320
	ds_write_b128 v248, v[66:69] offset:4160
	ds_write_b128 v248, v[70:73] offset:9152
	ds_write_b128 v248, v[74:77] offset:9984
	ds_write_b128 v248, v[78:81] offset:14976
	ds_write_b128 v248, v[82:85] offset:10816
	ds_write_b128 v248, v[86:89] offset:15808
	ds_write_b128 v248, v[90:93] offset:11648
	ds_write_b128 v248, v[152:155] offset:16640
	ds_write_b128 v248, v[156:159] offset:12480
	ds_write_b128 v248, v[160:163] offset:17472
	ds_write_b128 v248, v[164:167] offset:13312
	ds_write_b128 v248, v[168:171] offset:18304
	ds_write_b128 v248, v[172:175] offset:14144
	ds_write_b128 v248, v[176:179] offset:19136
	s_waitcnt lgkmcnt(0)
	; wave barrier
	s_waitcnt lgkmcnt(0)
	global_load_dwordx4 v[6:9], v[24:25], off offset:1760
	global_load_dwordx4 v[10:13], v[24:25], off offset:2592
	;; [unrolled: 1-line block ×3, first 2 shown]
	v_add_co_u32_e64 v0, s[0:1], s13, v52
	s_waitcnt vmcnt(2)
	v_accvgpr_write_b32 a221, v9
	v_addc_co_u32_e64 v1, s[0:1], 0, v53, s[0:1]
	global_load_dwordx4 v[20:23], v[0:1], off offset:160
	global_load_dwordx4 v[24:27], v[0:1], off offset:992
	;; [unrolled: 1-line block ×5, first 2 shown]
	v_add_co_u32_e64 v0, s[0:1], s12, v52
	v_accvgpr_write_b32 a220, v8
	s_nop 0
	v_addc_co_u32_e64 v1, s[0:1], 0, v53, s[0:1]
	global_load_dwordx4 v[48:51], v[0:1], off offset:224
	ds_read_b128 v[52:55], v248 offset:9984
	ds_read_b128 v[56:59], v248 offset:10816
	;; [unrolled: 1-line block ×9, first 2 shown]
	s_waitcnt lgkmcnt(8)
	v_mul_f64 v[2:3], v[54:55], v[8:9]
	v_mul_f64 v[4:5], v[52:53], v[8:9]
	v_fma_f64 v[2:3], v[52:53], v[6:7], -v[2:3]
	v_fmac_f64_e32 v[4:5], v[54:55], v[6:7]
	global_load_dwordx4 v[52:55], v[0:1], off offset:1056
	v_accvgpr_write_b32 a219, v7
	v_accvgpr_write_b32 a218, v6
	s_waitcnt vmcnt(8) lgkmcnt(7)
	v_mul_f64 v[6:7], v[58:59], v[12:13]
	v_fma_f64 v[152:153], v[56:57], v[10:11], -v[6:7]
	s_waitcnt vmcnt(7) lgkmcnt(6)
	v_mul_f64 v[6:7], v[62:63], v[18:19]
	v_mul_f64 v[94:95], v[56:57], v[12:13]
	v_fma_f64 v[90:91], v[60:61], v[16:17], -v[6:7]
	v_fmac_f64_e32 v[94:95], v[58:59], v[10:11]
	ds_read_b128 v[56:59], v248 offset:17472
	v_mul_f64 v[92:93], v[60:61], v[18:19]
	v_fmac_f64_e32 v[92:93], v[62:63], v[16:17]
	ds_read_b128 v[60:63], v248 offset:18304
	v_accvgpr_write_b32 a225, v13
	v_accvgpr_write_b32 a224, v12
	;; [unrolled: 1-line block ×4, first 2 shown]
	ds_read_b128 v[170:173], v248 offset:1664
	ds_read_b128 v[174:177], v248 offset:2496
	;; [unrolled: 1-line block ×6, first 2 shown]
	s_waitcnt lgkmcnt(5)
	v_add_f64 v[90:91], v[170:171], -v[90:91]
	v_add_f64 v[92:93], v[172:173], -v[92:93]
	v_fma_f64 v[170:171], v[170:171], 2.0, -v[90:91]
	v_fma_f64 v[172:173], v[172:173], 2.0, -v[92:93]
	v_accvgpr_write_b32 a229, v19
	v_accvgpr_write_b32 a228, v18
	;; [unrolled: 1-line block ×4, first 2 shown]
	s_waitcnt vmcnt(6)
	v_mul_f64 v[6:7], v[68:69], v[22:23]
	v_fma_f64 v[88:89], v[66:67], v[20:21], -v[6:7]
	s_waitcnt vmcnt(5)
	v_mul_f64 v[6:7], v[72:73], v[26:27]
	v_fma_f64 v[82:83], v[70:71], v[24:25], -v[6:7]
	;; [unrolled: 3-line block ×3, first 2 shown]
	s_waitcnt vmcnt(3)
	v_mul_f64 v[6:7], v[156:157], v[34:35]
	v_mul_f64 v[84:85], v[70:71], v[26:27]
	;; [unrolled: 1-line block ×3, first 2 shown]
	v_fma_f64 v[74:75], v[154:155], v[32:33], -v[6:7]
	s_waitcnt vmcnt(2)
	v_mul_f64 v[6:7], v[160:161], v[38:39]
	v_fmac_f64_e32 v[84:85], v[72:73], v[24:25]
	v_fma_f64 v[72:73], v[158:159], v[36:37], -v[6:7]
	s_waitcnt vmcnt(1)
	v_mul_f64 v[6:7], v[164:165], v[50:51]
	v_mul_f64 v[86:87], v[66:67], v[22:23]
	v_fma_f64 v[66:67], v[162:163], v[48:49], -v[6:7]
	s_waitcnt vmcnt(0)
	v_mul_f64 v[6:7], v[58:59], v[54:55]
	v_mul_f64 v[8:9], v[56:57], v[54:55]
	v_fma_f64 v[6:7], v[56:57], v[52:53], -v[6:7]
	v_fmac_f64_e32 v[8:9], v[58:59], v[52:53]
	global_load_dwordx4 v[56:59], v[0:1], off offset:1888
	v_fmac_f64_e32 v[86:87], v[68:69], v[20:21]
	s_waitcnt lgkmcnt(4)
	v_add_f64 v[178:179], v[174:175], -v[88:89]
	v_add_f64 v[180:181], v[176:177], -v[86:87]
	v_fma_f64 v[86:87], v[174:175], 2.0, -v[178:179]
	v_fma_f64 v[88:89], v[176:177], 2.0, -v[180:181]
	ds_read_b128 v[174:177], v248 offset:3328
	v_fmac_f64_e32 v[78:79], v[76:77], v[28:29]
	v_mul_f64 v[76:77], v[154:155], v[34:35]
	s_waitcnt lgkmcnt(4)
	v_add_f64 v[186:187], v[182:183], -v[80:81]
	v_add_f64 v[188:189], v[184:185], -v[78:79]
	v_fmac_f64_e32 v[76:77], v[156:157], v[32:33]
	ds_read_b128 v[154:157], v248 offset:19136
	v_fma_f64 v[78:79], v[182:183], 2.0, -v[186:187]
	v_fma_f64 v[80:81], v[184:185], 2.0, -v[188:189]
	ds_read_b128 v[182:185], v248 offset:4992
	v_mul_f64 v[70:71], v[158:159], v[38:39]
	v_fmac_f64_e32 v[70:71], v[160:161], v[36:37]
	s_waitcnt lgkmcnt(5)
	v_add_f64 v[194:195], v[190:191], -v[72:73]
	v_add_f64 v[196:197], v[192:193], -v[70:71]
	v_fma_f64 v[70:71], v[190:191], 2.0, -v[194:195]
	v_fma_f64 v[72:73], v[192:193], 2.0, -v[196:197]
	ds_read_b128 v[190:193], v248 offset:6656
	v_mul_f64 v[68:69], v[162:163], v[50:51]
	v_fmac_f64_e32 v[68:69], v[164:165], v[48:49]
	ds_read_b128 v[162:165], v248 offset:832
	s_waitcnt lgkmcnt(6)
	v_add_f64 v[220:221], v[216:217], -v[6:7]
	s_waitcnt lgkmcnt(1)
	v_add_f64 v[66:67], v[190:191], -v[66:67]
	v_add_f64 v[68:69], v[192:193], -v[68:69]
	;; [unrolled: 1-line block ×3, first 2 shown]
	s_waitcnt lgkmcnt(0)
	v_add_f64 v[166:167], v[162:163], -v[152:153]
	v_add_f64 v[168:169], v[164:165], -v[94:95]
	;; [unrolled: 1-line block ×5, first 2 shown]
	v_fma_f64 v[190:191], v[190:191], 2.0, -v[66:67]
	v_fma_f64 v[192:193], v[192:193], 2.0, -v[68:69]
	v_add_f64 v[222:223], v[218:219], -v[8:9]
	v_fma_f64 v[162:163], v[162:163], 2.0, -v[166:167]
	v_fma_f64 v[164:165], v[164:165], 2.0, -v[168:169]
	;; [unrolled: 1-line block ×8, first 2 shown]
	v_accvgpr_write_b32 a233, v23
	v_accvgpr_write_b32 a237, v27
	;; [unrolled: 1-line block ×20, first 2 shown]
	s_waitcnt vmcnt(0)
	v_mul_f64 v[10:11], v[62:63], v[58:59]
	v_mul_f64 v[198:199], v[60:61], v[58:59]
	v_fma_f64 v[10:11], v[60:61], v[56:57], -v[10:11]
	v_fmac_f64_e32 v[198:199], v[62:63], v[56:57]
	global_load_dwordx4 v[60:63], v[0:1], off offset:2720
	s_waitcnt vmcnt(0)
	v_mul_f64 v[0:1], v[156:157], v[62:63]
	v_mul_f64 v[12:13], v[154:155], v[62:63]
	v_fma_f64 v[250:251], v[154:155], v[60:61], -v[0:1]
	v_fmac_f64_e32 v[12:13], v[156:157], v[60:61]
	ds_read_b128 v[154:157], v248
	s_waitcnt lgkmcnt(0)
	v_add_f64 v[160:161], v[156:157], -v[4:5]
	ds_read_b128 v[4:7], v248 offset:9152
	v_add_f64 v[158:159], v[154:155], -v[2:3]
	v_fma_f64 v[154:155], v[154:155], 2.0, -v[158:159]
	v_fma_f64 v[156:157], v[156:157], 2.0, -v[160:161]
	v_add_f64 v[0:1], v[236:237], -v[10:11]
	v_add_f64 v[2:3], v[238:239], -v[198:199]
	s_waitcnt lgkmcnt(0)
	v_add_f64 v[8:9], v[4:5], -v[250:251]
	v_add_f64 v[10:11], v[6:7], -v[12:13]
	v_fma_f64 v[236:237], v[236:237], 2.0, -v[0:1]
	v_fma_f64 v[238:239], v[238:239], 2.0, -v[2:3]
	;; [unrolled: 1-line block ×4, first 2 shown]
	ds_write_b128 v248, v[154:157]
	ds_write_b128 v248, v[158:161] offset:9984
	ds_write_b128 v248, v[162:165] offset:832
	ds_write_b128 v248, v[166:169] offset:10816
	ds_write_b128 v248, v[170:173] offset:1664
	ds_write_b128 v248, v[90:93] offset:11648
	ds_write_b128 v248, v[86:89] offset:2496
	ds_write_b128 v248, v[178:181] offset:12480
	ds_write_b128 v248, v[174:177] offset:3328
	ds_write_b128 v248, v[82:85] offset:13312
	ds_write_b128 v248, v[78:81] offset:4160
	ds_write_b128 v248, v[186:189] offset:14144
	ds_write_b128 v248, v[182:185] offset:4992
	ds_write_b128 v248, v[74:77] offset:14976
	ds_write_b128 v248, v[70:73] offset:5824
	ds_write_b128 v248, v[194:197] offset:15808
	ds_write_b128 v248, v[190:193] offset:6656
	ds_write_b128 v248, v[66:69] offset:16640
	ds_write_b128 v248, v[216:219] offset:7488
	ds_write_b128 v248, v[220:223] offset:17472
	ds_write_b128 v248, v[236:239] offset:8320
	ds_write_b128 v248, v[0:3] offset:18304
	ds_write_b128 v248, v[4:7] offset:9152
	ds_write_b128 v248, v[8:11] offset:19136
	s_waitcnt lgkmcnt(0)
	; wave barrier
	s_waitcnt lgkmcnt(0)
	global_load_dwordx4 v[0:3], v64, s[8:9]
	v_lshl_add_u64 v[188:189], s[8:9], 0, v[64:65]
	v_add_co_u32_e64 v196, s[0:1], s11, v188
	s_nop 1
	v_addc_co_u32_e64 v197, s[0:1], 0, v189, s[0:1]
	global_load_dwordx4 v[4:7], v[196:197], off offset:1792
	global_load_dwordx4 v[8:11], v64, s[8:9] offset:832
	global_load_dwordx4 v[84:87], v[196:197], off offset:2624
	global_load_dwordx4 v[88:91], v64, s[8:9] offset:1664
	ds_read_b128 v[70:73], v248
	s_waitcnt vmcnt(4) lgkmcnt(0)
	v_mul_f64 v[12:13], v[72:73], v[2:3]
	v_fma_f64 v[68:69], v[70:71], v[0:1], -v[12:13]
	v_mul_f64 v[70:71], v[70:71], v[2:3]
	v_fmac_f64_e32 v[70:71], v[72:73], v[0:1]
	ds_read_b128 v[0:3], v248 offset:9984
	s_waitcnt vmcnt(3) lgkmcnt(0)
	v_mul_f64 v[12:13], v[2:3], v[6:7]
	v_mul_f64 v[74:75], v[0:1], v[6:7]
	v_fma_f64 v[72:73], v[0:1], v[4:5], -v[12:13]
	v_fmac_f64_e32 v[74:75], v[2:3], v[4:5]
	ds_read_b128 v[0:3], v248 offset:832
	v_accvgpr_read_b32 v12, a121
	s_waitcnt vmcnt(2) lgkmcnt(0)
	v_mul_f64 v[4:5], v[2:3], v[10:11]
	v_mul_f64 v[78:79], v[0:1], v[10:11]
	v_fma_f64 v[76:77], v[0:1], v[8:9], -v[4:5]
	v_fmac_f64_e32 v[78:79], v[2:3], v[8:9]
	ds_read_b128 v[0:3], v248 offset:10816
	s_waitcnt vmcnt(1) lgkmcnt(0)
	v_mul_f64 v[4:5], v[2:3], v[86:87]
	v_mul_f64 v[82:83], v[0:1], v[86:87]
	v_fma_f64 v[80:81], v[0:1], v[84:85], -v[4:5]
	v_fmac_f64_e32 v[82:83], v[2:3], v[84:85]
	ds_read_b128 v[0:3], v248 offset:1664
	s_waitcnt vmcnt(0) lgkmcnt(0)
	v_mul_f64 v[4:5], v[2:3], v[90:91]
	v_mul_f64 v[86:87], v[0:1], v[90:91]
	v_fma_f64 v[84:85], v[0:1], v[88:89], -v[4:5]
	v_fmac_f64_e32 v[86:87], v[2:3], v[88:89]
	global_load_dwordx4 v[0:3], v[196:197], off offset:3456
	ds_read_b128 v[4:7], v248 offset:11648
	s_waitcnt vmcnt(0) lgkmcnt(0)
	v_mul_f64 v[8:9], v[6:7], v[2:3]
	v_mul_f64 v[90:91], v[4:5], v[2:3]
	v_fma_f64 v[88:89], v[4:5], v[0:1], -v[8:9]
	v_fmac_f64_e32 v[90:91], v[6:7], v[0:1]
	global_load_dwordx4 v[0:3], v64, s[8:9] offset:2496
	ds_read_b128 v[4:7], v248 offset:2496
	s_waitcnt vmcnt(0) lgkmcnt(0)
	v_mul_f64 v[8:9], v[6:7], v[2:3]
	v_fma_f64 v[92:93], v[4:5], v[0:1], -v[8:9]
	v_add_co_u32_e64 v8, s[0:1], s13, v188
	v_mul_f64 v[94:95], v[4:5], v[2:3]
	s_nop 0
	v_addc_co_u32_e64 v9, s[0:1], 0, v189, s[0:1]
	v_fmac_f64_e32 v[94:95], v[6:7], v[0:1]
	global_load_dwordx4 v[0:3], v[8:9], off offset:192
	ds_read_b128 v[4:7], v248 offset:12480
	v_add_co_u32_e64 v192, s[0:1], s10, v188
	s_waitcnt vmcnt(0) lgkmcnt(0)
	v_mul_f64 v[10:11], v[6:7], v[2:3]
	v_mul_f64 v[162:163], v[4:5], v[2:3]
	v_fma_f64 v[160:161], v[4:5], v[0:1], -v[10:11]
	v_fmac_f64_e32 v[162:163], v[6:7], v[0:1]
	global_load_dwordx4 v[0:3], v64, s[8:9] offset:3328
	ds_read_b128 v[4:7], v248 offset:3328
	v_addc_co_u32_e64 v193, s[0:1], 0, v189, s[0:1]
	v_add_co_u32_e64 v198, s[0:1], s12, v188
	s_waitcnt vmcnt(0) lgkmcnt(0)
	v_mul_f64 v[10:11], v[6:7], v[2:3]
	v_mul_f64 v[170:171], v[4:5], v[2:3]
	v_fma_f64 v[168:169], v[4:5], v[0:1], -v[10:11]
	v_fmac_f64_e32 v[170:171], v[6:7], v[0:1]
	v_accvgpr_read_b32 v0, a250
	global_load_dwordx4 v[0:3], v0, s[8:9]
	ds_read_b128 v[4:7], v248 offset:13312
	v_addc_co_u32_e64 v199, s[0:1], 0, v189, s[0:1]
	s_waitcnt vmcnt(0) lgkmcnt(0)
	v_mul_f64 v[10:11], v[6:7], v[2:3]
	v_mul_f64 v[154:155], v[4:5], v[2:3]
	v_fma_f64 v[152:153], v[4:5], v[0:1], -v[10:11]
	v_fmac_f64_e32 v[154:155], v[6:7], v[0:1]
	global_load_dwordx4 v[0:3], v[192:193], off offset:64
	ds_read_b128 v[4:7], v248 offset:4160
	s_waitcnt vmcnt(0) lgkmcnt(0)
	v_mul_f64 v[10:11], v[6:7], v[2:3]
	v_mul_f64 v[158:159], v[4:5], v[2:3]
	v_fma_f64 v[156:157], v[4:5], v[0:1], -v[10:11]
	v_fmac_f64_e32 v[158:159], v[6:7], v[0:1]
	global_load_dwordx4 v[0:3], v[8:9], off offset:1856
	ds_read_b128 v[4:7], v248 offset:14144
	;; [unrolled: 7-line block ×9, first 2 shown]
	ds_write_b128 v248, v[68:71]
	ds_write_b128 v248, v[72:75] offset:9984
	ds_write_b128 v248, v[76:79] offset:832
	;; [unrolled: 1-line block ×12, first 2 shown]
	global_load_dwordx4 v[80:83], v[198:199], off offset:1088
	global_load_dwordx4 v[76:79], v[196:197], off offset:128
	ds_write_b128 v248, v[176:179] offset:14976
	ds_write_b128 v248, v[180:183] offset:5824
	global_load_dwordx4 v[72:75], v[198:199], off offset:1920
	global_load_dwordx4 v[68:71], v[196:197], off offset:960
	;; [unrolled: 1-line block ×3, first 2 shown]
	ds_write_b128 v248, v[184:187] offset:15808
	ds_write_b128 v248, v[64:67] offset:6656
	s_waitcnt vmcnt(5) lgkmcnt(14)
	v_mul_f64 v[8:9], v[6:7], v[2:3]
	v_mul_f64 v[194:195], v[4:5], v[2:3]
	v_fma_f64 v[192:193], v[4:5], v[0:1], -v[8:9]
	v_fmac_f64_e32 v[194:195], v[6:7], v[0:1]
	ds_read_b128 v[0:3], v248 offset:17472
	ds_write_b128 v248, v[188:191] offset:16640
	ds_write_b128 v248, v[192:195] offset:7488
	ds_read_b128 v[4:7], v248 offset:8320
	s_waitcnt vmcnt(4) lgkmcnt(3)
	v_mul_f64 v[8:9], v[2:3], v[82:83]
	v_mul_f64 v[10:11], v[0:1], v[82:83]
	v_fma_f64 v[8:9], v[0:1], v[80:81], -v[8:9]
	v_fmac_f64_e32 v[10:11], v[2:3], v[80:81]
	ds_read_b128 v[0:3], v248 offset:18304
	ds_write_b128 v248, v[8:11] offset:17472
	s_waitcnt vmcnt(3) lgkmcnt(2)
	v_mul_f64 v[8:9], v[6:7], v[78:79]
	v_mul_f64 v[10:11], v[4:5], v[78:79]
	v_fma_f64 v[8:9], v[4:5], v[76:77], -v[8:9]
	v_fmac_f64_e32 v[10:11], v[6:7], v[76:77]
	ds_write_b128 v248, v[8:11] offset:8320
	s_waitcnt vmcnt(2) lgkmcnt(2)
	v_mul_f64 v[8:9], v[2:3], v[74:75]
	ds_read_b128 v[4:7], v248 offset:9152
	v_mul_f64 v[10:11], v[0:1], v[74:75]
	v_fma_f64 v[8:9], v[0:1], v[72:73], -v[8:9]
	v_fmac_f64_e32 v[10:11], v[2:3], v[72:73]
	ds_read_b128 v[0:3], v248 offset:19136
	ds_write_b128 v248, v[8:11] offset:18304
	s_waitcnt vmcnt(1) lgkmcnt(2)
	v_mul_f64 v[8:9], v[6:7], v[70:71]
	v_mul_f64 v[10:11], v[4:5], v[70:71]
	v_fma_f64 v[8:9], v[4:5], v[68:69], -v[8:9]
	v_fmac_f64_e32 v[10:11], v[6:7], v[68:69]
	s_waitcnt vmcnt(0) lgkmcnt(1)
	v_mul_f64 v[4:5], v[2:3], v[86:87]
	v_mul_f64 v[6:7], v[0:1], v[86:87]
	v_fma_f64 v[4:5], v[0:1], v[84:85], -v[4:5]
	v_fmac_f64_e32 v[6:7], v[2:3], v[84:85]
	ds_write_b128 v248, v[8:11] offset:9152
	ds_write_b128 v248, v[4:7] offset:19136
	s_waitcnt lgkmcnt(0)
	; wave barrier
	s_waitcnt lgkmcnt(0)
	ds_read_b128 v[0:3], v248
	ds_read_b128 v[4:7], v248 offset:9984
	ds_read_b128 v[64:67], v248 offset:832
	;; [unrolled: 1-line block ×6, first 2 shown]
	s_waitcnt lgkmcnt(5)
	v_add_f64 v[4:5], v[0:1], -v[4:5]
	v_add_f64 v[6:7], v[2:3], -v[6:7]
	v_fma_f64 v[0:1], v[0:1], 2.0, -v[4:5]
	v_fma_f64 v[2:3], v[2:3], 2.0, -v[6:7]
	v_accvgpr_read_b32 v8, a134
	ds_read_b128 v[220:223], v248 offset:12480
	ds_read_b128 v[196:199], v248 offset:3328
	;; [unrolled: 1-line block ×17, first 2 shown]
	s_waitcnt lgkmcnt(0)
	; wave barrier
	s_waitcnt lgkmcnt(0)
	ds_write_b128 v8, v[0:3]
	ds_write_b128 v8, v[4:7] offset:16
	v_add_f64 v[0:1], v[64:65], -v[80:81]
	v_add_f64 v[2:3], v[66:67], -v[82:83]
	v_fma_f64 v[4:5], v[64:65], 2.0, -v[0:1]
	v_fma_f64 v[6:7], v[66:67], 2.0, -v[2:3]
	ds_write_b128 v14, v[4:7]
	ds_write_b128 v14, v[0:3] offset:16
	v_add_f64 v[0:1], v[68:69], -v[76:77]
	v_add_f64 v[2:3], v[70:71], -v[78:79]
	v_fma_f64 v[4:5], v[68:69], 2.0, -v[0:1]
	v_fma_f64 v[6:7], v[70:71], 2.0, -v[2:3]
	v_accvgpr_read_b32 v8, a132
	ds_write_b128 v8, v[4:7]
	ds_write_b128 v8, v[0:3] offset:16
	v_add_f64 v[0:1], v[72:73], -v[220:221]
	v_add_f64 v[2:3], v[74:75], -v[222:223]
	v_fma_f64 v[4:5], v[72:73], 2.0, -v[0:1]
	v_fma_f64 v[6:7], v[74:75], 2.0, -v[2:3]
	v_accvgpr_read_b32 v8, a131
	;; [unrolled: 7-line block ×5, first 2 shown]
	ds_write_b128 v8, v[4:7]
	ds_write_b128 v8, v[0:3] offset:16
	v_add_f64 v[0:1], v[156:157], -v[176:177]
	v_add_f64 v[2:3], v[158:159], -v[178:179]
	v_fma_f64 v[4:5], v[156:157], 2.0, -v[0:1]
	v_fma_f64 v[6:7], v[158:159], 2.0, -v[2:3]
	v_add_f64 v[8:9], v[152:153], -v[168:169]
	v_add_f64 v[10:11], v[154:155], -v[170:171]
	v_fma_f64 v[64:65], v[152:153], 2.0, -v[8:9]
	v_fma_f64 v[66:67], v[154:155], 2.0, -v[10:11]
	v_add_f64 v[68:69], v[92:93], -v[172:173]
	v_add_f64 v[70:71], v[94:95], -v[174:175]
	ds_write_b128 v12, v[4:7]
	ds_write_b128 v12, v[0:3] offset:16
	v_accvgpr_read_b32 v0, a123
	v_fma_f64 v[72:73], v[92:93], 2.0, -v[68:69]
	v_fma_f64 v[74:75], v[94:95], 2.0, -v[70:71]
	v_add_f64 v[76:77], v[88:89], -v[160:161]
	v_add_f64 v[78:79], v[90:91], -v[162:163]
	ds_write_b128 v0, v[64:67]
	ds_write_b128 v0, v[8:11] offset:16
	v_accvgpr_read_b32 v0, a124
	;; [unrolled: 7-line block ×3, first 2 shown]
	v_fma_f64 v[84:85], v[84:85], 2.0, -v[88:89]
	v_fma_f64 v[86:87], v[86:87], 2.0, -v[90:91]
	ds_write_b128 v0, v[80:83]
	ds_write_b128 v0, v[76:79] offset:16
	v_accvgpr_read_b32 v0, a126
	ds_write_b128 v0, v[84:87]
	ds_write_b128 v0, v[88:91] offset:16
	s_waitcnt lgkmcnt(0)
	; wave barrier
	s_waitcnt lgkmcnt(0)
	ds_read_b128 v[0:3], v248 offset:9984
	ds_read_b128 v[4:7], v248 offset:10816
	;; [unrolled: 1-line block ×10, first 2 shown]
	s_waitcnt lgkmcnt(9)
	v_mul_f64 v[12:13], v[146:147], v[2:3]
	v_fmac_f64_e32 v[12:13], v[144:145], v[0:1]
	v_mul_f64 v[0:1], v[146:147], v[0:1]
	v_fma_f64 v[14:15], v[144:145], v[2:3], -v[0:1]
	s_waitcnt lgkmcnt(8)
	v_mul_f64 v[0:1], v[146:147], v[4:5]
	v_fma_f64 v[194:195], v[144:145], v[6:7], -v[0:1]
	s_waitcnt lgkmcnt(7)
	;; [unrolled: 3-line block ×9, first 2 shown]
	v_mul_f64 v[0:1], v[146:147], v[88:89]
	v_fma_f64 v[170:171], v[144:145], v[90:91], -v[0:1]
	ds_read_b128 v[0:3], v248 offset:18304
	v_mul_f64 v[192:193], v[146:147], v[6:7]
	v_fmac_f64_e32 v[192:193], v[144:145], v[4:5]
	v_mul_f64 v[188:189], v[146:147], v[10:11]
	v_mul_f64 v[184:185], v[146:147], v[66:67]
	s_waitcnt lgkmcnt(0)
	v_mul_f64 v[172:173], v[146:147], v[2:3]
	v_fmac_f64_e32 v[172:173], v[144:145], v[0:1]
	v_mul_f64 v[0:1], v[146:147], v[0:1]
	v_fma_f64 v[174:175], v[144:145], v[2:3], -v[0:1]
	ds_read_b128 v[0:3], v248 offset:19136
	v_mul_f64 v[180:181], v[146:147], v[70:71]
	v_mul_f64 v[92:93], v[146:147], v[74:75]
	;; [unrolled: 1-line block ×4, first 2 shown]
	s_waitcnt lgkmcnt(0)
	v_mul_f64 v[176:177], v[146:147], v[2:3]
	v_fmac_f64_e32 v[176:177], v[144:145], v[0:1]
	v_mul_f64 v[0:1], v[146:147], v[0:1]
	v_fma_f64 v[178:179], v[144:145], v[2:3], -v[0:1]
	ds_read_b128 v[0:3], v248
	v_mul_f64 v[160:161], v[146:147], v[86:87]
	v_mul_f64 v[164:165], v[146:147], v[90:91]
	v_fmac_f64_e32 v[188:189], v[144:145], v[8:9]
	v_fmac_f64_e32 v[184:185], v[144:145], v[64:65]
	s_waitcnt lgkmcnt(0)
	v_add_f64 v[4:5], v[0:1], -v[12:13]
	v_add_f64 v[6:7], v[2:3], -v[14:15]
	v_fma_f64 v[0:1], v[0:1], 2.0, -v[4:5]
	v_fma_f64 v[2:3], v[2:3], 2.0, -v[6:7]
	v_accvgpr_read_b32 v12, a114
	v_fmac_f64_e32 v[180:181], v[144:145], v[68:69]
	v_fmac_f64_e32 v[92:93], v[144:145], v[72:73]
	v_fmac_f64_e32 v[94:95], v[144:145], v[76:77]
	v_fmac_f64_e32 v[156:157], v[144:145], v[80:81]
	v_fmac_f64_e32 v[160:161], v[144:145], v[84:85]
	v_fmac_f64_e32 v[164:165], v[144:145], v[88:89]
	ds_read_b128 v[8:11], v248 offset:832
	ds_read_b128 v[144:147], v248 offset:1664
	;; [unrolled: 1-line block ×11, first 2 shown]
	s_waitcnt lgkmcnt(0)
	; wave barrier
	s_waitcnt lgkmcnt(0)
	ds_write_b128 v12, v[0:3]
	ds_write_b128 v12, v[4:7] offset:32
	v_add_f64 v[0:1], v[8:9], -v[192:193]
	v_add_f64 v[2:3], v[10:11], -v[194:195]
	v_fma_f64 v[4:5], v[8:9], 2.0, -v[0:1]
	v_fma_f64 v[6:7], v[10:11], 2.0, -v[2:3]
	v_accvgpr_read_b32 v8, a113
	ds_write_b128 v8, v[4:7]
	ds_write_b128 v8, v[0:3] offset:32
	v_add_f64 v[0:1], v[144:145], -v[188:189]
	v_add_f64 v[2:3], v[146:147], -v[190:191]
	v_fma_f64 v[4:5], v[144:145], 2.0, -v[0:1]
	v_fma_f64 v[6:7], v[146:147], 2.0, -v[2:3]
	v_accvgpr_read_b32 v8, a112
	;; [unrolled: 7-line block ×4, first 2 shown]
	ds_write_b128 v8, v[4:7]
	ds_write_b128 v8, v[0:3] offset:32
	v_add_f64 v[0:1], v[76:77], -v[92:93]
	v_add_f64 v[2:3], v[78:79], -v[158:159]
	v_fma_f64 v[4:5], v[76:77], 2.0, -v[0:1]
	v_fma_f64 v[6:7], v[78:79], 2.0, -v[2:3]
	v_add_f64 v[144:145], v[68:69], -v[94:95]
	v_add_f64 v[146:147], v[70:71], -v[162:163]
	v_accvgpr_read_b32 v12, a101
	v_fma_f64 v[8:9], v[68:69], 2.0, -v[144:145]
	v_fma_f64 v[10:11], v[70:71], 2.0, -v[146:147]
	v_add_f64 v[68:69], v[64:65], -v[156:157]
	v_add_f64 v[70:71], v[66:67], -v[166:167]
	ds_write_b128 v12, v[4:7]
	ds_write_b128 v12, v[0:3] offset:32
	v_accvgpr_read_b32 v0, a102
	v_fma_f64 v[64:65], v[64:65], 2.0, -v[68:69]
	v_fma_f64 v[66:67], v[66:67], 2.0, -v[70:71]
	v_add_f64 v[76:77], v[72:73], -v[160:161]
	v_add_f64 v[78:79], v[74:75], -v[168:169]
	ds_write_b128 v0, v[8:11]
	ds_write_b128 v0, v[144:147] offset:32
	;; [unrolled: 7-line block ×5, first 2 shown]
	v_accvgpr_read_b32 v0, a106
	v_fma_f64 v[160:161], v[152:153], 2.0, -v[88:89]
	v_fma_f64 v[162:163], v[154:155], 2.0, -v[90:91]
	ds_write_b128 v0, v[168:171]
	ds_write_b128 v0, v[92:95] offset:32
	v_accvgpr_read_b32 v0, a107
	ds_write_b128 v0, v[160:163]
	ds_write_b128 v0, v[88:91] offset:32
	s_waitcnt lgkmcnt(0)
	; wave barrier
	s_waitcnt lgkmcnt(0)
	ds_read_b128 v[152:155], v248
	ds_read_b128 v[236:239], v248 offset:1536
	ds_read_b128 v[220:223], v248 offset:3072
	ds_read_b128 v[216:219], v248 offset:4608
	ds_read_b128 v[196:199], v248 offset:6144
	ds_read_b128 v[192:195], v248 offset:7680
	ds_read_b128 v[188:191], v248 offset:9216
	ds_read_b128 v[184:187], v248 offset:10752
	ds_read_b128 v[180:183], v248 offset:12288
	ds_read_b128 v[176:179], v248 offset:13824
	ds_read_b128 v[172:175], v248 offset:15360
	ds_read_b128 v[164:167], v248 offset:16896
	ds_read_b128 v[156:159], v248 offset:18432
	s_and_saveexec_b64 s[0:1], vcc
	s_cbranch_execz .LBB0_7
; %bb.6:
	ds_read_b128 v[144:147], v248 offset:832
	ds_read_b128 v[64:67], v248 offset:2368
	;; [unrolled: 1-line block ×13, first 2 shown]
.LBB0_7:
	s_or_b64 exec, exec, s[0:1]
	s_waitcnt lgkmcnt(10)
	v_mul_f64 v[4:5], v[102:103], v[222:223]
	v_mul_f64 v[0:1], v[98:99], v[238:239]
	v_fmac_f64_e32 v[4:5], v[100:101], v[220:221]
	v_mul_f64 v[6:7], v[102:103], v[220:221]
	s_waitcnt lgkmcnt(9)
	v_mul_f64 v[220:221], v[106:107], v[218:219]
	v_mul_f64 v[8:9], v[106:107], v[216:217]
	v_fmac_f64_e32 v[0:1], v[96:97], v[236:237]
	v_mul_f64 v[2:3], v[98:99], v[236:237]
	v_fmac_f64_e32 v[220:221], v[104:105], v[216:217]
	v_fma_f64 v[218:219], v[104:105], v[218:219], -v[8:9]
	s_waitcnt lgkmcnt(8)
	v_mul_f64 v[216:217], v[110:111], v[198:199]
	v_mul_f64 v[8:9], v[110:111], v[196:197]
	s_waitcnt lgkmcnt(0)
	v_mul_f64 v[12:13], v[122:123], v[158:159]
	v_fma_f64 v[2:3], v[96:97], v[238:239], -v[2:3]
	v_fmac_f64_e32 v[216:217], v[108:109], v[196:197]
	v_fma_f64 v[198:199], v[108:109], v[198:199], -v[8:9]
	v_mul_f64 v[196:197], v[114:115], v[194:195]
	v_mul_f64 v[8:9], v[114:115], v[192:193]
	v_fmac_f64_e32 v[12:13], v[120:121], v[156:157]
	v_mul_f64 v[14:15], v[122:123], v[156:157]
	v_add_f64 v[156:157], v[152:153], v[0:1]
	v_fma_f64 v[6:7], v[100:101], v[222:223], -v[6:7]
	v_fmac_f64_e32 v[196:197], v[112:113], v[192:193]
	v_fma_f64 v[194:195], v[112:113], v[194:195], -v[8:9]
	v_mul_f64 v[192:193], v[130:131], v[190:191]
	v_mul_f64 v[8:9], v[130:131], v[188:189]
	v_fma_f64 v[14:15], v[120:121], v[158:159], -v[14:15]
	v_add_f64 v[158:159], v[154:155], v[2:3]
	v_add_f64 v[156:157], v[156:157], v[4:5]
	v_fmac_f64_e32 v[192:193], v[128:129], v[188:189]
	v_fma_f64 v[188:189], v[128:129], v[190:191], -v[8:9]
	v_mul_f64 v[190:191], v[126:127], v[186:187]
	v_mul_f64 v[8:9], v[126:127], v[184:185]
	v_add_f64 v[158:159], v[158:159], v[6:7]
	v_add_f64 v[156:157], v[156:157], v[220:221]
	v_fmac_f64_e32 v[190:191], v[124:125], v[184:185]
	v_fma_f64 v[184:185], v[124:125], v[186:187], -v[8:9]
	v_mul_f64 v[186:187], v[118:119], v[182:183]
	v_mul_f64 v[8:9], v[118:119], v[180:181]
	;; [unrolled: 6-line block ×4, first 2 shown]
	v_mul_f64 v[10:11], v[134:135], v[164:165]
	v_add_f64 v[158:159], v[158:159], v[194:195]
	v_add_f64 v[156:157], v[156:157], v[192:193]
	s_mov_b32 s8, 0x1ea71119
	v_fmac_f64_e32 v[178:179], v[136:137], v[172:173]
	v_fma_f64 v[172:173], v[136:137], v[174:175], -v[8:9]
	v_mul_f64 v[8:9], v[134:135], v[166:167]
	v_fma_f64 v[10:11], v[132:133], v[166:167], -v[10:11]
	v_add_f64 v[158:159], v[158:159], v[188:189]
	v_add_f64 v[156:157], v[156:157], v[190:191]
	v_add_f64 v[166:167], v[2:3], v[14:15]
	s_mov_b32 s9, 0x3fe22d96
	v_fmac_f64_e32 v[8:9], v[132:133], v[164:165]
	v_add_f64 v[158:159], v[158:159], v[184:185]
	v_add_f64 v[156:157], v[156:157], v[186:187]
	v_add_f64 v[164:165], v[0:1], v[12:13]
	v_add_f64 v[0:1], v[0:1], -v[12:13]
	v_add_f64 v[2:3], v[2:3], -v[14:15]
	v_mul_f64 v[250:251], v[166:167], s[8:9]
	s_mov_b32 s41, 0x3fea55e2
	s_mov_b32 s40, s14
	v_add_f64 v[158:159], v[158:159], v[180:181]
	v_add_f64 v[156:157], v[156:157], v[182:183]
	v_mul_f64 v[236:237], v[2:3], s[14:15]
	v_fma_f64 v[16:17], s[40:41], v[0:1], v[250:251]
	v_fmac_f64_e32 v[250:251], s[14:15], v[0:1]
	s_mov_b32 s12, 0xebaa3ed8
	s_mov_b32 s22, 0x2ef20147
	v_add_f64 v[158:159], v[158:159], v[176:177]
	v_add_f64 v[156:157], v[156:157], v[178:179]
	s_mov_b32 s10, 0x4267c47c
	v_fma_f64 v[238:239], s[8:9], v[164:165], v[236:237]
	v_fma_f64 v[18:19], v[164:165], s[8:9], -v[236:237]
	v_add_f64 v[236:237], v[154:155], v[250:251]
	v_mul_f64 v[250:251], v[2:3], s[18:19]
	s_mov_b32 s13, 0x3fbedb7d
	s_mov_b32 s23, 0xbfedeba7
	;; [unrolled: 1-line block ×4, first 2 shown]
	v_add_f64 v[158:159], v[158:159], v[172:173]
	v_add_f64 v[156:157], v[156:157], v[8:9]
	s_mov_b32 s11, 0xbfddbe06
	s_mov_b32 s0, 0xe00740e9
	v_fma_f64 v[20:21], s[12:13], v[164:165], v[250:251]
	v_fma_f64 v[26:27], v[164:165], s[12:13], -v[250:251]
	v_mul_f64 v[250:251], v[2:3], s[22:23]
	s_mov_b32 s17, 0xbfd6b1d8
	s_mov_b32 s29, 0xbfe5384d
	;; [unrolled: 1-line block ×4, first 2 shown]
	v_add_f64 v[158:159], v[158:159], v[10:11]
	v_add_f64 v[156:157], v[156:157], v[12:13]
	v_mul_f64 v[12:13], v[2:3], s[10:11]
	s_mov_b32 s1, 0x3fec55a7
	v_fma_f64 v[28:29], s[16:17], v[164:165], v[250:251]
	v_fma_f64 v[34:35], v[164:165], s[16:17], -v[250:251]
	v_mul_f64 v[250:251], v[2:3], s[28:29]
	s_mov_b32 s21, 0xbfe7f3cc
	v_mul_f64 v[2:3], v[2:3], s[30:31]
	s_mov_b32 s27, 0xbfef11f4
	v_add_f64 v[158:159], v[158:159], v[14:15]
	v_fma_f64 v[14:15], s[0:1], v[164:165], v[12:13]
	v_fma_f64 v[12:13], v[164:165], s[0:1], -v[12:13]
	v_fma_f64 v[36:37], s[20:21], v[164:165], v[250:251]
	v_fma_f64 v[42:43], v[164:165], s[20:21], -v[250:251]
	v_fma_f64 v[250:251], s[26:27], v[164:165], v[2:3]
	v_fma_f64 v[2:3], v[164:165], s[26:27], -v[2:3]
	v_add_f64 v[14:15], v[152:153], v[14:15]
	v_add_f64 v[12:13], v[152:153], v[12:13]
	;; [unrolled: 1-line block ×13, first 2 shown]
	v_add_f64 v[6:7], v[6:7], -v[10:11]
	v_add_f64 v[46:47], v[4:5], v[8:9]
	v_add_f64 v[4:5], v[4:5], -v[8:9]
	v_mul_f64 v[8:9], v[6:7], s[14:15]
	v_mul_f64 v[174:175], v[166:167], s[0:1]
	s_mov_b32 s25, 0x3fddbe06
	s_mov_b32 s24, s10
	v_mul_f64 v[22:23], v[166:167], s[12:13]
	s_mov_b32 s35, 0x3fefc445
	s_mov_b32 s34, s18
	;; [unrolled: 3-line block ×5, first 2 shown]
	v_fma_f64 v[10:11], s[8:9], v[46:47], v[8:9]
	v_fma_f64 v[222:223], s[24:25], v[0:1], v[174:175]
	v_fmac_f64_e32 v[174:175], s[10:11], v[0:1]
	v_fma_f64 v[24:25], s[34:35], v[0:1], v[22:23]
	v_fmac_f64_e32 v[22:23], s[18:19], v[0:1]
	;; [unrolled: 2-line block ×5, first 2 shown]
	v_add_f64 v[10:11], v[10:11], v[14:15]
	v_mul_f64 v[14:15], v[152:153], s[8:9]
	v_add_f64 v[222:223], v[154:155], v[222:223]
	v_add_f64 v[174:175], v[154:155], v[174:175]
	;; [unrolled: 1-line block ×11, first 2 shown]
	v_fma_f64 v[154:155], s[40:41], v[4:5], v[14:15]
	v_fma_f64 v[8:9], v[46:47], s[8:9], -v[8:9]
	v_fmac_f64_e32 v[14:15], s[14:15], v[4:5]
	v_add_f64 v[8:9], v[8:9], v[12:13]
	v_add_f64 v[12:13], v[14:15], v[174:175]
	v_mul_f64 v[14:15], v[6:7], s[22:23]
	v_mul_f64 v[166:167], v[152:153], s[16:17]
	v_fma_f64 v[164:165], s[16:17], v[46:47], v[14:15]
	v_fma_f64 v[174:175], s[38:39], v[4:5], v[166:167]
	v_fma_f64 v[14:15], v[46:47], s[16:17], -v[14:15]
	v_fmac_f64_e32 v[166:167], s[22:23], v[4:5]
	v_add_f64 v[14:15], v[14:15], v[18:19]
	v_add_f64 v[18:19], v[166:167], v[236:237]
	v_mul_f64 v[166:167], v[6:7], s[30:31]
	v_add_f64 v[16:17], v[174:175], v[16:17]
	v_fma_f64 v[174:175], s[26:27], v[46:47], v[166:167]
	v_add_f64 v[20:21], v[174:175], v[20:21]
	v_mul_f64 v[174:175], v[152:153], s[26:27]
	v_fma_f64 v[166:167], v[46:47], s[26:27], -v[166:167]
	v_add_f64 v[154:155], v[154:155], v[222:223]
	v_fma_f64 v[222:223], s[42:43], v[4:5], v[174:175]
	v_add_f64 v[26:27], v[166:167], v[26:27]
	v_fmac_f64_e32 v[174:175], s[30:31], v[4:5]
	v_mul_f64 v[166:167], v[6:7], s[36:37]
	v_add_f64 v[22:23], v[174:175], v[22:23]
	v_fma_f64 v[174:175], s[20:21], v[46:47], v[166:167]
	v_add_f64 v[28:29], v[174:175], v[28:29]
	v_mul_f64 v[174:175], v[152:153], s[20:21]
	v_fma_f64 v[166:167], v[46:47], s[20:21], -v[166:167]
	v_add_f64 v[24:25], v[222:223], v[24:25]
	v_fma_f64 v[222:223], s[28:29], v[4:5], v[174:175]
	v_add_f64 v[34:35], v[166:167], v[34:35]
	v_fmac_f64_e32 v[174:175], s[36:37], v[4:5]
	v_mul_f64 v[166:167], v[6:7], s[34:35]
	v_add_f64 v[30:31], v[174:175], v[30:31]
	v_fma_f64 v[174:175], s[12:13], v[46:47], v[166:167]
	v_add_f64 v[36:37], v[174:175], v[36:37]
	v_mul_f64 v[174:175], v[152:153], s[12:13]
	v_add_f64 v[32:33], v[222:223], v[32:33]
	v_fma_f64 v[222:223], s[18:19], v[4:5], v[174:175]
	v_fmac_f64_e32 v[174:175], s[34:35], v[4:5]
	v_mul_f64 v[152:153], v[152:153], s[0:1]
	v_fma_f64 v[166:167], v[46:47], s[12:13], -v[166:167]
	v_add_f64 v[38:39], v[174:175], v[38:39]
	v_mul_f64 v[6:7], v[6:7], s[24:25]
	v_fma_f64 v[174:175], s[10:11], v[4:5], v[152:153]
	v_fmac_f64_e32 v[152:153], s[24:25], v[4:5]
	v_add_f64 v[42:43], v[166:167], v[42:43]
	v_fma_f64 v[166:167], s[0:1], v[46:47], v[6:7]
	v_fma_f64 v[6:7], v[46:47], s[0:1], -v[6:7]
	v_add_f64 v[0:1], v[152:153], v[0:1]
	v_add_f64 v[152:153], v[218:219], -v[172:173]
	v_add_f64 v[2:3], v[6:7], v[2:3]
	v_add_f64 v[4:5], v[220:221], v[178:179]
	;; [unrolled: 1-line block ×3, first 2 shown]
	v_mul_f64 v[172:173], v[152:153], s[18:19]
	v_add_f64 v[44:45], v[174:175], v[44:45]
	v_fma_f64 v[174:175], s[12:13], v[4:5], v[172:173]
	v_add_f64 v[46:47], v[220:221], -v[178:179]
	v_add_f64 v[10:11], v[174:175], v[10:11]
	v_mul_f64 v[174:175], v[6:7], s[12:13]
	v_fma_f64 v[172:173], v[4:5], s[12:13], -v[172:173]
	v_fma_f64 v[178:179], s[34:35], v[46:47], v[174:175]
	v_add_f64 v[8:9], v[172:173], v[8:9]
	v_fmac_f64_e32 v[174:175], s[18:19], v[46:47]
	v_mul_f64 v[172:173], v[152:153], s[30:31]
	v_add_f64 v[164:165], v[164:165], v[238:239]
	v_add_f64 v[12:13], v[174:175], v[12:13]
	v_fma_f64 v[174:175], s[26:27], v[4:5], v[172:173]
	v_add_f64 v[164:165], v[174:175], v[164:165]
	v_mul_f64 v[174:175], v[6:7], s[26:27]
	v_fma_f64 v[172:173], v[4:5], s[26:27], -v[172:173]
	v_add_f64 v[154:155], v[178:179], v[154:155]
	v_fma_f64 v[178:179], s[42:43], v[46:47], v[174:175]
	v_add_f64 v[14:15], v[172:173], v[14:15]
	v_fmac_f64_e32 v[174:175], s[30:31], v[46:47]
	v_mul_f64 v[172:173], v[152:153], s[38:39]
	v_add_f64 v[18:19], v[174:175], v[18:19]
	v_fma_f64 v[174:175], s[16:17], v[4:5], v[172:173]
	v_add_f64 v[20:21], v[174:175], v[20:21]
	v_mul_f64 v[174:175], v[6:7], s[16:17]
	v_fma_f64 v[172:173], v[4:5], s[16:17], -v[172:173]
	v_add_f64 v[16:17], v[178:179], v[16:17]
	v_fma_f64 v[178:179], s[22:23], v[46:47], v[174:175]
	v_add_f64 v[26:27], v[172:173], v[26:27]
	v_fmac_f64_e32 v[174:175], s[38:39], v[46:47]
	v_mul_f64 v[172:173], v[152:153], s[24:25]
	;; [unrolled: 10-line block ×3, first 2 shown]
	v_add_f64 v[30:31], v[174:175], v[30:31]
	v_fma_f64 v[174:175], s[8:9], v[4:5], v[172:173]
	v_fma_f64 v[172:173], v[4:5], s[8:9], -v[172:173]
	v_mul_f64 v[152:153], v[152:153], s[28:29]
	v_add_f64 v[166:167], v[166:167], v[250:251]
	v_add_f64 v[36:37], v[174:175], v[36:37]
	v_mul_f64 v[174:175], v[6:7], s[8:9]
	v_add_f64 v[42:43], v[172:173], v[42:43]
	v_fma_f64 v[172:173], s[20:21], v[4:5], v[152:153]
	v_mul_f64 v[6:7], v[6:7], s[20:21]
	v_add_f64 v[166:167], v[172:173], v[166:167]
	v_fma_f64 v[172:173], s[36:37], v[46:47], v[6:7]
	v_fma_f64 v[4:5], v[4:5], s[20:21], -v[152:153]
	v_add_f64 v[152:153], v[198:199], -v[176:177]
	v_add_f64 v[32:33], v[178:179], v[32:33]
	v_fma_f64 v[178:179], s[40:41], v[46:47], v[174:175]
	v_fmac_f64_e32 v[174:175], s[14:15], v[46:47]
	v_add_f64 v[44:45], v[172:173], v[44:45]
	v_add_f64 v[2:3], v[4:5], v[2:3]
	v_fmac_f64_e32 v[6:7], s[28:29], v[46:47]
	v_add_f64 v[4:5], v[216:217], v[182:183]
	v_mul_f64 v[172:173], v[152:153], s[22:23]
	v_add_f64 v[38:39], v[174:175], v[38:39]
	v_add_f64 v[0:1], v[6:7], v[0:1]
	v_add_f64 v[6:7], v[198:199], v[176:177]
	v_fma_f64 v[174:175], s[16:17], v[4:5], v[172:173]
	v_add_f64 v[46:47], v[216:217], -v[182:183]
	v_add_f64 v[10:11], v[174:175], v[10:11]
	v_mul_f64 v[174:175], v[6:7], s[16:17]
	v_fma_f64 v[172:173], v[4:5], s[16:17], -v[172:173]
	v_fma_f64 v[176:177], s[38:39], v[46:47], v[174:175]
	v_add_f64 v[8:9], v[172:173], v[8:9]
	v_fmac_f64_e32 v[174:175], s[22:23], v[46:47]
	v_mul_f64 v[172:173], v[152:153], s[36:37]
	v_add_f64 v[12:13], v[174:175], v[12:13]
	v_fma_f64 v[174:175], s[20:21], v[4:5], v[172:173]
	v_add_f64 v[164:165], v[174:175], v[164:165]
	v_mul_f64 v[174:175], v[6:7], s[20:21]
	v_fma_f64 v[172:173], v[4:5], s[20:21], -v[172:173]
	v_add_f64 v[154:155], v[176:177], v[154:155]
	v_fma_f64 v[176:177], s[28:29], v[46:47], v[174:175]
	v_add_f64 v[14:15], v[172:173], v[14:15]
	v_fmac_f64_e32 v[174:175], s[36:37], v[46:47]
	v_mul_f64 v[172:173], v[152:153], s[24:25]
	v_add_f64 v[18:19], v[174:175], v[18:19]
	v_fma_f64 v[174:175], s[0:1], v[4:5], v[172:173]
	v_add_f64 v[20:21], v[174:175], v[20:21]
	v_mul_f64 v[174:175], v[6:7], s[0:1]
	v_fma_f64 v[172:173], v[4:5], s[0:1], -v[172:173]
	v_add_f64 v[16:17], v[176:177], v[16:17]
	;; [unrolled: 10-line block ×3, first 2 shown]
	v_fma_f64 v[176:177], s[34:35], v[46:47], v[174:175]
	v_add_f64 v[34:35], v[172:173], v[34:35]
	v_fmac_f64_e32 v[174:175], s[18:19], v[46:47]
	v_mul_f64 v[172:173], v[152:153], s[42:43]
	v_add_f64 v[30:31], v[174:175], v[30:31]
	v_fma_f64 v[174:175], s[26:27], v[4:5], v[172:173]
	v_fma_f64 v[172:173], v[4:5], s[26:27], -v[172:173]
	v_mul_f64 v[152:153], v[152:153], s[40:41]
	v_add_f64 v[36:37], v[174:175], v[36:37]
	v_mul_f64 v[174:175], v[6:7], s[26:27]
	v_add_f64 v[42:43], v[172:173], v[42:43]
	v_fma_f64 v[172:173], s[8:9], v[4:5], v[152:153]
	v_mul_f64 v[6:7], v[6:7], s[8:9]
	v_add_f64 v[166:167], v[172:173], v[166:167]
	v_fma_f64 v[172:173], s[14:15], v[46:47], v[6:7]
	v_fma_f64 v[4:5], v[4:5], s[8:9], -v[152:153]
	v_add_f64 v[152:153], v[194:195], -v[180:181]
	v_add_f64 v[32:33], v[176:177], v[32:33]
	v_fma_f64 v[176:177], s[30:31], v[46:47], v[174:175]
	v_fmac_f64_e32 v[174:175], s[42:43], v[46:47]
	v_add_f64 v[44:45], v[172:173], v[44:45]
	v_add_f64 v[2:3], v[4:5], v[2:3]
	v_fmac_f64_e32 v[6:7], s[40:41], v[46:47]
	v_add_f64 v[4:5], v[196:197], v[186:187]
	v_mul_f64 v[172:173], v[152:153], s[28:29]
	v_add_f64 v[40:41], v[222:223], v[40:41]
	v_add_f64 v[38:39], v[174:175], v[38:39]
	;; [unrolled: 1-line block ×4, first 2 shown]
	v_fma_f64 v[174:175], s[20:21], v[4:5], v[172:173]
	v_add_f64 v[40:41], v[178:179], v[40:41]
	v_add_f64 v[46:47], v[196:197], -v[186:187]
	v_add_f64 v[10:11], v[174:175], v[10:11]
	v_mul_f64 v[174:175], v[6:7], s[20:21]
	v_fma_f64 v[172:173], v[4:5], s[20:21], -v[172:173]
	v_add_f64 v[40:41], v[176:177], v[40:41]
	v_fma_f64 v[176:177], s[36:37], v[46:47], v[174:175]
	v_add_f64 v[8:9], v[172:173], v[8:9]
	v_fmac_f64_e32 v[174:175], s[28:29], v[46:47]
	v_mul_f64 v[172:173], v[152:153], s[34:35]
	v_add_f64 v[12:13], v[174:175], v[12:13]
	v_fma_f64 v[174:175], s[12:13], v[4:5], v[172:173]
	v_add_f64 v[164:165], v[174:175], v[164:165]
	v_mul_f64 v[174:175], v[6:7], s[12:13]
	v_fma_f64 v[172:173], v[4:5], s[12:13], -v[172:173]
	v_add_f64 v[154:155], v[176:177], v[154:155]
	v_fma_f64 v[176:177], s[18:19], v[46:47], v[174:175]
	v_add_f64 v[14:15], v[172:173], v[14:15]
	v_fmac_f64_e32 v[174:175], s[34:35], v[46:47]
	v_mul_f64 v[172:173], v[152:153], s[14:15]
	v_add_f64 v[18:19], v[174:175], v[18:19]
	v_fma_f64 v[174:175], s[8:9], v[4:5], v[172:173]
	;; [unrolled: 10-line block ×4, first 2 shown]
	v_fma_f64 v[172:173], v[4:5], s[0:1], -v[172:173]
	v_mul_f64 v[152:153], v[152:153], s[22:23]
	v_add_f64 v[36:37], v[174:175], v[36:37]
	v_mul_f64 v[174:175], v[6:7], s[0:1]
	v_add_f64 v[42:43], v[172:173], v[42:43]
	v_fma_f64 v[172:173], s[16:17], v[4:5], v[152:153]
	v_mul_f64 v[6:7], v[6:7], s[16:17]
	v_add_f64 v[194:195], v[172:173], v[166:167]
	v_fma_f64 v[166:167], s[38:39], v[46:47], v[6:7]
	v_fmac_f64_e32 v[6:7], s[22:23], v[46:47]
	v_add_f64 v[216:217], v[188:189], v[184:185]
	v_add_f64 v[32:33], v[176:177], v[32:33]
	v_fma_f64 v[176:177], s[10:11], v[46:47], v[174:175]
	v_fmac_f64_e32 v[174:175], s[24:25], v[46:47]
	v_fma_f64 v[4:5], v[4:5], s[16:17], -v[152:153]
	v_add_f64 v[46:47], v[6:7], v[0:1]
	v_add_f64 v[198:199], v[192:193], v[190:191]
	v_add_f64 v[218:219], v[192:193], -v[190:191]
	v_add_f64 v[192:193], v[188:189], -v[184:185]
	v_mul_f64 v[6:7], v[216:217], s[26:27]
	v_add_f64 v[196:197], v[4:5], v[2:3]
	v_mul_f64 v[4:5], v[192:193], s[30:31]
	v_fma_f64 v[2:3], s[42:43], v[218:219], v[6:7]
	v_fmac_f64_e32 v[6:7], s[30:31], v[218:219]
	v_fma_f64 v[0:1], s[26:27], v[198:199], v[4:5]
	v_fma_f64 v[4:5], v[198:199], s[26:27], -v[4:5]
	v_add_f64 v[6:7], v[6:7], v[12:13]
	v_mul_f64 v[12:13], v[192:193], s[24:25]
	v_add_f64 v[4:5], v[4:5], v[8:9]
	v_fma_f64 v[8:9], s[0:1], v[198:199], v[12:13]
	v_fma_f64 v[12:13], v[198:199], s[0:1], -v[12:13]
	v_add_f64 v[152:153], v[12:13], v[14:15]
	v_mul_f64 v[12:13], v[192:193], s[28:29]
	v_add_f64 v[2:3], v[2:3], v[154:155]
	v_mul_f64 v[154:155], v[216:217], s[0:1]
	v_fma_f64 v[14:15], s[20:21], v[198:199], v[12:13]
	v_add_f64 v[0:1], v[0:1], v[10:11]
	v_add_f64 v[8:9], v[8:9], v[164:165]
	v_fma_f64 v[10:11], s[10:11], v[218:219], v[154:155]
	v_add_f64 v[164:165], v[14:15], v[20:21]
	v_mul_f64 v[14:15], v[216:217], s[20:21]
	v_fma_f64 v[12:13], v[198:199], s[20:21], -v[12:13]
	v_add_f64 v[10:11], v[10:11], v[16:17]
	v_fma_f64 v[16:17], s[36:37], v[218:219], v[14:15]
	v_add_f64 v[172:173], v[12:13], v[26:27]
	v_fmac_f64_e32 v[14:15], s[28:29], v[218:219]
	v_mul_f64 v[12:13], v[192:193], s[40:41]
	v_add_f64 v[38:39], v[174:175], v[38:39]
	v_add_f64 v[174:175], v[14:15], v[22:23]
	v_fma_f64 v[14:15], s[8:9], v[198:199], v[12:13]
	v_add_f64 v[40:41], v[176:177], v[40:41]
	v_add_f64 v[176:177], v[14:15], v[28:29]
	v_mul_f64 v[14:15], v[216:217], s[8:9]
	v_fma_f64 v[12:13], v[198:199], s[8:9], -v[12:13]
	v_add_f64 v[44:45], v[166:167], v[44:45]
	v_add_f64 v[166:167], v[16:17], v[24:25]
	v_fma_f64 v[16:17], s[14:15], v[218:219], v[14:15]
	v_add_f64 v[180:181], v[12:13], v[34:35]
	v_fmac_f64_e32 v[14:15], s[40:41], v[218:219]
	v_mul_f64 v[12:13], v[192:193], s[22:23]
	v_add_f64 v[182:183], v[14:15], v[30:31]
	v_fma_f64 v[14:15], s[16:17], v[198:199], v[12:13]
	v_add_f64 v[184:185], v[14:15], v[36:37]
	v_mul_f64 v[14:15], v[216:217], s[16:17]
	v_fma_f64 v[12:13], v[198:199], s[16:17], -v[12:13]
	v_add_f64 v[178:179], v[16:17], v[32:33]
	v_fma_f64 v[16:17], s[38:39], v[218:219], v[14:15]
	v_add_f64 v[188:189], v[12:13], v[42:43]
	v_fmac_f64_e32 v[14:15], s[22:23], v[218:219]
	v_mul_f64 v[12:13], v[192:193], s[34:35]
	v_add_f64 v[190:191], v[14:15], v[38:39]
	v_fma_f64 v[14:15], s[12:13], v[198:199], v[12:13]
	v_add_f64 v[192:193], v[14:15], v[194:195]
	v_mul_f64 v[14:15], v[216:217], s[12:13]
	v_fmac_f64_e32 v[154:155], s[24:25], v[218:219]
	v_add_f64 v[186:187], v[16:17], v[40:41]
	v_fma_f64 v[16:17], s[18:19], v[218:219], v[14:15]
	v_fma_f64 v[12:13], v[198:199], s[12:13], -v[12:13]
	v_fmac_f64_e32 v[14:15], s[34:35], v[218:219]
	v_add_f64 v[154:155], v[154:155], v[18:19]
	v_add_f64 v[194:195], v[16:17], v[44:45]
	;; [unrolled: 1-line block ×4, first 2 shown]
	s_waitcnt lgkmcnt(0)
	; wave barrier
	ds_write_b128 v249, v[156:159]
	ds_write_b128 v249, v[0:3] offset:64
	ds_write_b128 v249, v[8:11] offset:128
	;; [unrolled: 1-line block ×12, first 2 shown]
	s_and_saveexec_b64 s[44:45], vcc
	s_cbranch_execz .LBB0_9
; %bb.8:
	v_mul_f64 v[152:153], v[130:131], v[86:87]
	v_mul_f64 v[2:3], v[130:131], v[84:85]
	v_fmac_f64_e32 v[152:153], v[128:129], v[84:85]
	v_mul_f64 v[154:155], v[126:127], v[170:171]
	v_fma_f64 v[128:129], v[128:129], v[86:87], -v[2:3]
	v_mul_f64 v[2:3], v[126:127], v[168:169]
	v_mul_f64 v[6:7], v[114:115], v[80:81]
	v_fmac_f64_e32 v[154:155], v[124:125], v[168:169]
	v_fma_f64 v[130:131], v[124:125], v[170:171], -v[2:3]
	v_mul_f64 v[124:125], v[114:115], v[82:83]
	v_mul_f64 v[126:127], v[118:119], v[94:95]
	v_fma_f64 v[114:115], v[112:113], v[82:83], -v[6:7]
	v_mul_f64 v[6:7], v[118:119], v[92:93]
	v_mul_f64 v[10:11], v[110:111], v[76:77]
	v_accvgpr_read_b32 v20, a152
	v_fmac_f64_e32 v[124:125], v[112:113], v[80:81]
	v_fmac_f64_e32 v[126:127], v[116:117], v[92:93]
	v_fma_f64 v[112:113], v[116:117], v[94:95], -v[6:7]
	v_mul_f64 v[94:95], v[110:111], v[78:79]
	v_mul_f64 v[92:93], v[142:143], v[162:163]
	v_fma_f64 v[118:119], v[108:109], v[78:79], -v[10:11]
	v_mul_f64 v[10:11], v[142:143], v[160:161]
	v_mul_f64 v[110:111], v[106:107], v[74:75]
	;; [unrolled: 1-line block ×3, first 2 shown]
	v_accvgpr_read_b32 v21, a153
	v_accvgpr_read_b32 v22, a154
	;; [unrolled: 1-line block ×3, first 2 shown]
	v_mul_f64 v[18:19], v[102:103], v[68:69]
	v_accvgpr_read_b32 v24, a144
	v_fmac_f64_e32 v[94:95], v[108:109], v[76:77]
	v_fmac_f64_e32 v[92:93], v[140:141], v[160:161]
	v_fma_f64 v[116:117], v[140:141], v[162:163], -v[10:11]
	v_fmac_f64_e32 v[110:111], v[104:105], v[72:73]
	v_mul_f64 v[108:109], v[138:139], v[90:91]
	v_fma_f64 v[140:141], v[104:105], v[74:75], -v[14:15]
	v_mul_f64 v[14:15], v[138:139], v[88:89]
	v_mul_f64 v[106:107], v[102:103], v[70:71]
	;; [unrolled: 1-line block ×3, first 2 shown]
	v_fma_f64 v[138:139], v[100:101], v[70:71], -v[18:19]
	v_mul_f64 v[18:19], v[134:135], v[20:21]
	v_accvgpr_read_b32 v26, a146
	v_accvgpr_read_b32 v27, a147
	v_fmac_f64_e32 v[106:107], v[100:101], v[68:69]
	v_fmac_f64_e32 v[104:105], v[132:133], v[20:21]
	v_fma_f64 v[132:133], v[132:133], v[22:23], -v[18:19]
	v_mul_f64 v[102:103], v[98:99], v[66:67]
	v_accvgpr_read_b32 v25, a145
	v_mul_f64 v[100:101], v[122:123], v[26:27]
	v_mul_f64 v[22:23], v[98:99], v[64:65]
	v_fmac_f64_e32 v[102:103], v[96:97], v[64:65]
	v_fmac_f64_e32 v[100:101], v[120:121], v[24:25]
	v_fma_f64 v[98:99], v[96:97], v[66:67], -v[22:23]
	v_mul_f64 v[22:23], v[122:123], v[24:25]
	v_add_f64 v[182:183], v[102:103], -v[100:101]
	v_fma_f64 v[96:97], v[120:121], v[26:27], -v[22:23]
	v_fmac_f64_e32 v[108:109], v[136:137], v[88:89]
	v_add_f64 v[180:181], v[106:107], -v[104:105]
	v_mul_f64 v[20:21], v[182:183], s[30:31]
	v_add_f64 v[120:121], v[98:99], v[96:97]
	v_add_f64 v[172:173], v[110:111], -v[108:109]
	v_fma_f64 v[136:137], v[136:137], v[90:91], -v[14:15]
	v_mul_f64 v[16:17], v[180:181], s[24:25]
	v_add_f64 v[134:135], v[138:139], v[132:133]
	v_fma_f64 v[22:23], s[26:27], v[120:121], v[20:21]
	v_add_f64 v[194:195], v[98:99], -v[96:97]
	v_add_f64 v[168:169], v[94:95], -v[92:93]
	v_mul_f64 v[12:13], v[172:173], s[28:29]
	v_add_f64 v[160:161], v[140:141], v[136:137]
	v_fma_f64 v[18:19], s[0:1], v[134:135], v[16:17]
	v_add_f64 v[22:23], v[146:147], v[22:23]
	v_add_f64 v[192:193], v[138:139], -v[132:133]
	v_add_f64 v[178:179], v[102:103], v[100:101]
	v_mul_f64 v[32:33], v[194:195], s[30:31]
	v_add_f64 v[166:167], v[124:125], -v[126:127]
	v_mul_f64 v[8:9], v[168:169], s[40:41]
	v_add_f64 v[142:143], v[118:119], v[116:117]
	v_fma_f64 v[14:15], s[20:21], v[160:161], v[12:13]
	v_add_f64 v[18:19], v[18:19], v[22:23]
	v_add_f64 v[190:191], v[140:141], -v[136:137]
	v_add_f64 v[176:177], v[106:107], v[104:105]
	v_mul_f64 v[28:29], v[192:193], s[24:25]
	v_fma_f64 v[34:35], v[178:179], s[26:27], -v[32:33]
	v_add_f64 v[164:165], v[152:153], -v[154:155]
	v_mul_f64 v[4:5], v[166:167], s[22:23]
	v_add_f64 v[158:159], v[114:115], v[112:113]
	v_fma_f64 v[10:11], s[8:9], v[142:143], v[8:9]
	v_add_f64 v[14:15], v[14:15], v[18:19]
	v_add_f64 v[188:189], v[118:119], -v[116:117]
	v_add_f64 v[174:175], v[110:111], v[108:109]
	v_mul_f64 v[24:25], v[190:191], s[28:29]
	v_fma_f64 v[30:31], v[176:177], s[0:1], -v[28:29]
	v_add_f64 v[34:35], v[144:145], v[34:35]
	v_mul_f64 v[0:1], v[164:165], s[34:35]
	v_add_f64 v[156:157], v[128:129], v[130:131]
	v_fma_f64 v[6:7], s[16:17], v[158:159], v[4:5]
	v_add_f64 v[10:11], v[10:11], v[14:15]
	v_add_f64 v[186:187], v[114:115], -v[112:113]
	v_add_f64 v[170:171], v[94:95], v[92:93]
	v_mul_f64 v[18:19], v[188:189], s[40:41]
	v_fma_f64 v[26:27], v[174:175], s[20:21], -v[24:25]
	v_add_f64 v[30:31], v[30:31], v[34:35]
	v_fma_f64 v[2:3], s[12:13], v[156:157], v[0:1]
	v_add_f64 v[6:7], v[6:7], v[10:11]
	v_add_f64 v[184:185], v[128:129], -v[130:131]
	v_add_f64 v[162:163], v[124:125], v[126:127]
	v_mul_f64 v[10:11], v[186:187], s[22:23]
	v_fma_f64 v[22:23], v[170:171], s[8:9], -v[18:19]
	v_add_f64 v[26:27], v[26:27], v[30:31]
	v_add_f64 v[66:67], v[2:3], v[6:7]
	;; [unrolled: 1-line block ×3, first 2 shown]
	v_mul_f64 v[2:3], v[184:185], s[34:35]
	v_fma_f64 v[14:15], v[162:163], s[16:17], -v[10:11]
	v_add_f64 v[22:23], v[22:23], v[26:27]
	v_fma_f64 v[6:7], v[122:123], s[12:13], -v[2:3]
	v_add_f64 v[14:15], v[14:15], v[22:23]
	v_add_f64 v[64:65], v[6:7], v[14:15]
	v_fma_f64 v[14:15], v[120:121], s[26:27], -v[20:21]
	v_fma_f64 v[6:7], v[142:143], s[8:9], -v[8:9]
	v_fma_f64 v[8:9], v[160:161], s[20:21], -v[12:13]
	v_fma_f64 v[12:13], v[134:135], s[0:1], -v[16:17]
	v_add_f64 v[14:15], v[146:147], v[14:15]
	v_add_f64 v[12:13], v[12:13], v[14:15]
	v_add_f64 v[8:9], v[8:9], v[12:13]
	v_fma_f64 v[4:5], v[158:159], s[16:17], -v[4:5]
	v_add_f64 v[6:7], v[6:7], v[8:9]
	v_fma_f64 v[0:1], v[156:157], s[12:13], -v[0:1]
	v_add_f64 v[4:5], v[4:5], v[6:7]
	v_fmac_f64_e32 v[32:33], s[26:27], v[178:179]
	v_add_f64 v[70:71], v[0:1], v[4:5]
	v_fmac_f64_e32 v[28:29], s[0:1], v[176:177]
	v_add_f64 v[0:1], v[144:145], v[32:33]
	v_fmac_f64_e32 v[24:25], s[20:21], v[174:175]
	v_add_f64 v[0:1], v[28:29], v[0:1]
	v_mul_f64 v[20:21], v[182:183], s[28:29]
	v_fmac_f64_e32 v[18:19], s[8:9], v[170:171]
	v_add_f64 v[0:1], v[24:25], v[0:1]
	v_mul_f64 v[16:17], v[180:181], s[34:35]
	v_fma_f64 v[22:23], s[20:21], v[120:121], v[20:21]
	v_add_f64 v[0:1], v[18:19], v[0:1]
	v_mul_f64 v[12:13], v[172:173], s[14:15]
	v_fma_f64 v[18:19], s[12:13], v[134:135], v[16:17]
	v_add_f64 v[22:23], v[146:147], v[22:23]
	v_mul_f64 v[32:33], v[194:195], s[28:29]
	v_fmac_f64_e32 v[10:11], s[16:17], v[162:163]
	v_mul_f64 v[8:9], v[168:169], s[42:43]
	v_fma_f64 v[14:15], s[8:9], v[160:161], v[12:13]
	v_add_f64 v[18:19], v[18:19], v[22:23]
	v_mul_f64 v[28:29], v[192:193], s[34:35]
	v_fma_f64 v[34:35], v[178:179], s[20:21], -v[32:33]
	v_fmac_f64_e32 v[2:3], s[12:13], v[122:123]
	v_add_f64 v[0:1], v[10:11], v[0:1]
	v_mul_f64 v[4:5], v[166:167], s[24:25]
	v_fma_f64 v[10:11], s[26:27], v[142:143], v[8:9]
	v_add_f64 v[14:15], v[14:15], v[18:19]
	v_mul_f64 v[24:25], v[190:191], s[14:15]
	v_fma_f64 v[30:31], v[176:177], s[12:13], -v[28:29]
	v_add_f64 v[34:35], v[144:145], v[34:35]
	v_add_f64 v[68:69], v[2:3], v[0:1]
	v_mul_f64 v[0:1], v[164:165], s[22:23]
	v_fma_f64 v[6:7], s[0:1], v[158:159], v[4:5]
	v_add_f64 v[10:11], v[10:11], v[14:15]
	v_mul_f64 v[18:19], v[188:189], s[42:43]
	v_fma_f64 v[26:27], v[174:175], s[8:9], -v[24:25]
	v_add_f64 v[30:31], v[30:31], v[34:35]
	v_fma_f64 v[2:3], s[16:17], v[156:157], v[0:1]
	v_add_f64 v[6:7], v[6:7], v[10:11]
	v_mul_f64 v[10:11], v[186:187], s[24:25]
	v_fma_f64 v[22:23], v[170:171], s[26:27], -v[18:19]
	v_add_f64 v[26:27], v[26:27], v[30:31]
	v_add_f64 v[74:75], v[2:3], v[6:7]
	v_mul_f64 v[2:3], v[184:185], s[22:23]
	v_fma_f64 v[14:15], v[162:163], s[0:1], -v[10:11]
	v_add_f64 v[22:23], v[22:23], v[26:27]
	v_fma_f64 v[6:7], v[122:123], s[16:17], -v[2:3]
	v_add_f64 v[14:15], v[14:15], v[22:23]
	v_add_f64 v[72:73], v[6:7], v[14:15]
	v_fma_f64 v[14:15], v[120:121], s[20:21], -v[20:21]
	v_fma_f64 v[6:7], v[142:143], s[26:27], -v[8:9]
	v_fma_f64 v[8:9], v[160:161], s[8:9], -v[12:13]
	v_fma_f64 v[12:13], v[134:135], s[12:13], -v[16:17]
	v_add_f64 v[14:15], v[146:147], v[14:15]
	v_add_f64 v[12:13], v[12:13], v[14:15]
	v_add_f64 v[8:9], v[8:9], v[12:13]
	v_fma_f64 v[4:5], v[158:159], s[0:1], -v[4:5]
	v_add_f64 v[6:7], v[6:7], v[8:9]
	v_fma_f64 v[0:1], v[156:157], s[16:17], -v[0:1]
	v_add_f64 v[4:5], v[4:5], v[6:7]
	v_fmac_f64_e32 v[32:33], s[20:21], v[178:179]
	v_add_f64 v[78:79], v[0:1], v[4:5]
	v_fmac_f64_e32 v[28:29], s[12:13], v[176:177]
	v_add_f64 v[0:1], v[144:145], v[32:33]
	v_fmac_f64_e32 v[24:25], s[8:9], v[174:175]
	v_add_f64 v[0:1], v[28:29], v[0:1]
	v_mul_f64 v[20:21], v[182:183], s[22:23]
	v_fmac_f64_e32 v[18:19], s[26:27], v[170:171]
	v_add_f64 v[0:1], v[24:25], v[0:1]
	v_mul_f64 v[16:17], v[180:181], s[36:37]
	v_fma_f64 v[22:23], s[16:17], v[120:121], v[20:21]
	v_add_f64 v[0:1], v[18:19], v[0:1]
	v_mul_f64 v[12:13], v[172:173], s[24:25]
	v_fma_f64 v[18:19], s[20:21], v[134:135], v[16:17]
	v_add_f64 v[22:23], v[146:147], v[22:23]
	v_mul_f64 v[32:33], v[194:195], s[22:23]
	v_fmac_f64_e32 v[10:11], s[0:1], v[162:163]
	v_mul_f64 v[8:9], v[168:169], s[18:19]
	v_fma_f64 v[14:15], s[0:1], v[160:161], v[12:13]
	v_add_f64 v[18:19], v[18:19], v[22:23]
	v_mul_f64 v[28:29], v[192:193], s[36:37]
	v_fma_f64 v[34:35], v[178:179], s[16:17], -v[32:33]
	v_fmac_f64_e32 v[2:3], s[16:17], v[122:123]
	v_add_f64 v[0:1], v[10:11], v[0:1]
	v_mul_f64 v[4:5], v[166:167], s[42:43]
	v_fma_f64 v[10:11], s[12:13], v[142:143], v[8:9]
	v_add_f64 v[14:15], v[14:15], v[18:19]
	v_mul_f64 v[24:25], v[190:191], s[24:25]
	v_fma_f64 v[30:31], v[176:177], s[20:21], -v[28:29]
	v_add_f64 v[34:35], v[144:145], v[34:35]
	v_add_f64 v[76:77], v[2:3], v[0:1]
	v_mul_f64 v[0:1], v[164:165], s[40:41]
	v_fma_f64 v[6:7], s[26:27], v[158:159], v[4:5]
	v_add_f64 v[10:11], v[10:11], v[14:15]
	v_mul_f64 v[18:19], v[188:189], s[18:19]
	v_fma_f64 v[26:27], v[174:175], s[0:1], -v[24:25]
	v_add_f64 v[30:31], v[30:31], v[34:35]
	v_fma_f64 v[2:3], s[8:9], v[156:157], v[0:1]
	v_add_f64 v[6:7], v[6:7], v[10:11]
	v_mul_f64 v[10:11], v[186:187], s[42:43]
	v_fma_f64 v[22:23], v[170:171], s[12:13], -v[18:19]
	v_add_f64 v[26:27], v[26:27], v[30:31]
	v_add_f64 v[82:83], v[2:3], v[6:7]
	;; [unrolled: 60-line block ×3, first 2 shown]
	v_mul_f64 v[6:7], v[184:185], s[28:29]
	v_fma_f64 v[14:15], v[162:163], s[8:9], -v[10:11]
	v_add_f64 v[22:23], v[22:23], v[26:27]
	v_fma_f64 v[2:3], v[122:123], s[20:21], -v[6:7]
	v_add_f64 v[14:15], v[14:15], v[22:23]
	v_add_f64 v[88:89], v[2:3], v[14:15]
	v_fma_f64 v[14:15], v[120:121], s[12:13], -v[20:21]
	v_fma_f64 v[2:3], v[158:159], s[8:9], -v[4:5]
	;; [unrolled: 1-line block ×5, first 2 shown]
	v_add_f64 v[14:15], v[146:147], v[14:15]
	v_add_f64 v[12:13], v[12:13], v[14:15]
	;; [unrolled: 1-line block ×4, first 2 shown]
	v_fma_f64 v[0:1], v[156:157], s[20:21], -v[0:1]
	v_add_f64 v[2:3], v[2:3], v[4:5]
	v_fmac_f64_e32 v[32:33], s[12:13], v[178:179]
	v_add_f64 v[2:3], v[0:1], v[2:3]
	v_fmac_f64_e32 v[28:29], s[26:27], v[176:177]
	;; [unrolled: 2-line block ×3, first 2 shown]
	v_add_f64 v[0:1], v[28:29], v[0:1]
	v_add_f64 v[0:1], v[24:25], v[0:1]
	v_mul_f64 v[24:25], v[182:183], s[14:15]
	v_mul_f64 v[20:21], v[180:181], s[22:23]
	v_fma_f64 v[26:27], s[8:9], v[120:121], v[24:25]
	v_mul_f64 v[38:39], v[194:195], s[14:15]
	v_fmac_f64_e32 v[18:19], s[0:1], v[170:171]
	v_mul_f64 v[16:17], v[172:173], s[30:31]
	v_fma_f64 v[22:23], s[16:17], v[134:135], v[20:21]
	v_add_f64 v[26:27], v[146:147], v[26:27]
	v_mul_f64 v[34:35], v[192:193], s[22:23]
	v_fma_f64 v[40:41], v[178:179], s[8:9], -v[38:39]
	v_fmac_f64_e32 v[10:11], s[8:9], v[162:163]
	v_add_f64 v[0:1], v[18:19], v[0:1]
	v_mul_f64 v[12:13], v[168:169], s[36:37]
	v_fma_f64 v[18:19], s[26:27], v[160:161], v[16:17]
	v_add_f64 v[22:23], v[22:23], v[26:27]
	v_mul_f64 v[30:31], v[190:191], s[30:31]
	v_fma_f64 v[36:37], v[176:177], s[16:17], -v[34:35]
	v_add_f64 v[40:41], v[144:145], v[40:41]
	v_fmac_f64_e32 v[6:7], s[20:21], v[122:123]
	v_add_f64 v[0:1], v[10:11], v[0:1]
	v_mul_f64 v[10:11], v[166:167], s[34:35]
	v_fma_f64 v[14:15], s[20:21], v[142:143], v[12:13]
	v_add_f64 v[18:19], v[18:19], v[22:23]
	v_mul_f64 v[26:27], v[188:189], s[36:37]
	v_fma_f64 v[32:33], v[174:175], s[26:27], -v[30:31]
	v_add_f64 v[36:37], v[36:37], v[40:41]
	v_add_f64 v[0:1], v[6:7], v[0:1]
	v_mul_f64 v[8:9], v[164:165], s[24:25]
	v_fma_f64 v[6:7], s[12:13], v[158:159], v[10:11]
	v_add_f64 v[14:15], v[14:15], v[18:19]
	v_mul_f64 v[18:19], v[186:187], s[34:35]
	v_fma_f64 v[28:29], v[170:171], s[20:21], -v[26:27]
	v_add_f64 v[32:33], v[32:33], v[36:37]
	v_fma_f64 v[4:5], s[0:1], v[156:157], v[8:9]
	v_add_f64 v[6:7], v[6:7], v[14:15]
	v_mul_f64 v[14:15], v[184:185], s[24:25]
	v_fma_f64 v[22:23], v[162:163], s[12:13], -v[18:19]
	v_add_f64 v[28:29], v[28:29], v[32:33]
	v_add_f64 v[6:7], v[4:5], v[6:7]
	v_fma_f64 v[4:5], v[122:123], s[0:1], -v[14:15]
	v_add_f64 v[22:23], v[22:23], v[28:29]
	v_add_f64 v[4:5], v[4:5], v[22:23]
	v_fma_f64 v[22:23], v[120:121], s[8:9], -v[24:25]
	v_fma_f64 v[20:21], v[134:135], s[16:17], -v[20:21]
	v_add_f64 v[22:23], v[146:147], v[22:23]
	v_fma_f64 v[16:17], v[160:161], s[26:27], -v[16:17]
	v_add_f64 v[20:21], v[20:21], v[22:23]
	;; [unrolled: 2-line block ×5, first 2 shown]
	v_fmac_f64_e32 v[38:39], s[8:9], v[178:179]
	v_add_f64 v[10:11], v[8:9], v[10:11]
	v_fmac_f64_e32 v[34:35], s[16:17], v[176:177]
	v_add_f64 v[8:9], v[144:145], v[38:39]
	v_mul_f64 v[32:33], v[182:183], s[10:11]
	v_fmac_f64_e32 v[30:31], s[26:27], v[174:175]
	v_add_f64 v[8:9], v[34:35], v[8:9]
	v_mul_f64 v[28:29], v[180:181], s[14:15]
	v_fma_f64 v[34:35], s[0:1], v[120:121], v[32:33]
	v_fmac_f64_e32 v[26:27], s[20:21], v[170:171]
	v_add_f64 v[8:9], v[30:31], v[8:9]
	v_mul_f64 v[24:25], v[172:173], s[18:19]
	v_fma_f64 v[30:31], s[8:9], v[134:135], v[28:29]
	v_add_f64 v[34:35], v[146:147], v[34:35]
	v_mul_f64 v[44:45], v[194:195], s[10:11]
	v_add_f64 v[8:9], v[26:27], v[8:9]
	v_mul_f64 v[20:21], v[168:169], s[22:23]
	v_fma_f64 v[26:27], s[12:13], v[160:161], v[24:25]
	v_add_f64 v[30:31], v[30:31], v[34:35]
	v_mul_f64 v[40:41], v[192:193], s[14:15]
	v_fma_f64 v[46:47], v[178:179], s[0:1], -v[44:45]
	v_fmac_f64_e32 v[18:19], s[12:13], v[162:163]
	v_mul_f64 v[16:17], v[166:167], s[28:29]
	v_fma_f64 v[22:23], s[16:17], v[142:143], v[20:21]
	v_add_f64 v[26:27], v[26:27], v[30:31]
	v_mul_f64 v[36:37], v[190:191], s[18:19]
	v_fma_f64 v[42:43], v[176:177], s[8:9], -v[40:41]
	v_add_f64 v[46:47], v[144:145], v[46:47]
	v_fmac_f64_e32 v[14:15], s[0:1], v[122:123]
	v_add_f64 v[8:9], v[18:19], v[8:9]
	v_mul_f64 v[12:13], v[164:165], s[30:31]
	v_fma_f64 v[18:19], s[20:21], v[158:159], v[16:17]
	v_add_f64 v[22:23], v[22:23], v[26:27]
	v_mul_f64 v[30:31], v[188:189], s[22:23]
	v_fma_f64 v[38:39], v[174:175], s[12:13], -v[36:37]
	v_add_f64 v[42:43], v[42:43], v[46:47]
	v_add_f64 v[8:9], v[14:15], v[8:9]
	v_fma_f64 v[14:15], s[26:27], v[156:157], v[12:13]
	v_add_f64 v[18:19], v[18:19], v[22:23]
	v_mul_f64 v[22:23], v[186:187], s[28:29]
	v_fma_f64 v[34:35], v[170:171], s[16:17], -v[30:31]
	v_add_f64 v[38:39], v[38:39], v[42:43]
	v_add_f64 v[166:167], v[14:15], v[18:19]
	v_mul_f64 v[14:15], v[184:185], s[30:31]
	v_fma_f64 v[26:27], v[162:163], s[20:21], -v[22:23]
	v_add_f64 v[34:35], v[34:35], v[38:39]
	v_fma_f64 v[18:19], v[122:123], s[26:27], -v[14:15]
	v_add_f64 v[26:27], v[26:27], v[34:35]
	v_add_f64 v[164:165], v[18:19], v[26:27]
	v_fma_f64 v[26:27], v[120:121], s[0:1], -v[32:33]
	v_fma_f64 v[18:19], v[142:143], s[16:17], -v[20:21]
	;; [unrolled: 1-line block ×4, first 2 shown]
	v_add_f64 v[26:27], v[146:147], v[26:27]
	v_add_f64 v[24:25], v[24:25], v[26:27]
	;; [unrolled: 1-line block ×3, first 2 shown]
	v_fma_f64 v[16:17], v[158:159], s[20:21], -v[16:17]
	v_add_f64 v[18:19], v[18:19], v[20:21]
	v_fma_f64 v[12:13], v[156:157], s[26:27], -v[12:13]
	v_add_f64 v[16:17], v[16:17], v[18:19]
	v_fmac_f64_e32 v[44:45], s[0:1], v[178:179]
	v_add_f64 v[158:159], v[12:13], v[16:17]
	v_fmac_f64_e32 v[40:41], s[8:9], v[176:177]
	;; [unrolled: 2-line block ×6, first 2 shown]
	v_add_f64 v[12:13], v[22:23], v[12:13]
	v_add_f64 v[156:157], v[14:15], v[12:13]
	;; [unrolled: 1-line block ×26, first 2 shown]
	v_accvgpr_read_b32 v12, a100
	v_mul_u32_u24_e32 v12, 52, v12
	v_accvgpr_read_b32 v13, a31
	v_or_b32_e32 v12, v12, v13
	v_lshlrev_b32_e32 v12, 4, v12
	ds_write_b128 v12, v[94:97]
	ds_write_b128 v12, v[156:159] offset:64
	ds_write_b128 v12, v[8:11] offset:128
	;; [unrolled: 1-line block ×12, first 2 shown]
.LBB0_9:
	s_or_b64 exec, exec, s[44:45]
	s_waitcnt lgkmcnt(0)
	; wave barrier
	s_waitcnt lgkmcnt(0)
	ds_read_b128 v[0:3], v248 offset:9984
	ds_read_b128 v[4:7], v248 offset:10816
	v_accvgpr_read_b32 v18, a136
	v_accvgpr_read_b32 v20, a138
	;; [unrolled: 1-line block ×3, first 2 shown]
	s_waitcnt lgkmcnt(1)
	v_mul_f64 v[8:9], v[150:151], v[2:3]
	v_fmac_f64_e32 v[8:9], v[148:149], v[0:1]
	v_mul_f64 v[0:1], v[150:151], v[0:1]
	v_fma_f64 v[10:11], v[148:149], v[2:3], -v[0:1]
	s_waitcnt lgkmcnt(0)
	v_mul_f64 v[12:13], v[150:151], v[6:7]
	v_mul_f64 v[0:1], v[150:151], v[4:5]
	v_fmac_f64_e32 v[12:13], v[148:149], v[4:5]
	v_fma_f64 v[14:15], v[148:149], v[6:7], -v[0:1]
	ds_read_b128 v[0:3], v248 offset:11648
	ds_read_b128 v[4:7], v248 offset:12480
	v_accvgpr_read_b32 v19, a137
	v_accvgpr_read_b32 v22, a140
	;; [unrolled: 1-line block ×3, first 2 shown]
	s_waitcnt lgkmcnt(1)
	v_mul_f64 v[16:17], v[20:21], v[2:3]
	v_fmac_f64_e32 v[16:17], v[18:19], v[0:1]
	v_mul_f64 v[0:1], v[20:21], v[0:1]
	v_accvgpr_read_b32 v25, a143
	v_fma_f64 v[18:19], v[18:19], v[2:3], -v[0:1]
	v_accvgpr_read_b32 v23, a141
	s_waitcnt lgkmcnt(0)
	v_mul_f64 v[20:21], v[24:25], v[6:7]
	v_mul_f64 v[0:1], v[24:25], v[4:5]
	v_fmac_f64_e32 v[20:21], v[22:23], v[4:5]
	v_fma_f64 v[22:23], v[22:23], v[6:7], -v[0:1]
	ds_read_b128 v[0:3], v248 offset:13312
	ds_read_b128 v[4:7], v248 offset:14144
	v_accvgpr_read_b32 v24, a148
	v_accvgpr_read_b32 v26, a150
	v_accvgpr_read_b32 v27, a151
	v_accvgpr_read_b32 v25, a149
	s_waitcnt lgkmcnt(1)
	v_mul_f64 v[92:93], v[26:27], v[2:3]
	v_fmac_f64_e32 v[92:93], v[24:25], v[0:1]
	v_mul_f64 v[0:1], v[26:27], v[0:1]
	v_fma_f64 v[94:95], v[24:25], v[2:3], -v[0:1]
	v_accvgpr_read_b32 v24, a156
	v_accvgpr_read_b32 v26, a158
	v_accvgpr_read_b32 v27, a159
	v_accvgpr_read_b32 v25, a157
	s_waitcnt lgkmcnt(0)
	v_mul_f64 v[88:89], v[26:27], v[6:7]
	v_mul_f64 v[0:1], v[26:27], v[4:5]
	v_fmac_f64_e32 v[88:89], v[24:25], v[4:5]
	v_fma_f64 v[90:91], v[24:25], v[6:7], -v[0:1]
	ds_read_b128 v[0:3], v248 offset:14976
	ds_read_b128 v[4:7], v248 offset:15808
	v_accvgpr_read_b32 v24, a160
	v_accvgpr_read_b32 v26, a162
	v_accvgpr_read_b32 v27, a163
	v_accvgpr_read_b32 v25, a161
	s_waitcnt lgkmcnt(1)
	v_mul_f64 v[84:85], v[26:27], v[2:3]
	v_fmac_f64_e32 v[84:85], v[24:25], v[0:1]
	v_mul_f64 v[0:1], v[26:27], v[0:1]
	v_fma_f64 v[86:87], v[24:25], v[2:3], -v[0:1]
	v_accvgpr_read_b32 v24, a164
	v_accvgpr_read_b32 v26, a166
	v_accvgpr_read_b32 v27, a167
	;; [unrolled: 20-line block ×4, first 2 shown]
	v_accvgpr_read_b32 v25, a181
	s_waitcnt lgkmcnt(0)
	v_mul_f64 v[70:71], v[26:27], v[6:7]
	v_mul_f64 v[0:1], v[26:27], v[4:5]
	v_fmac_f64_e32 v[70:71], v[24:25], v[4:5]
	v_fma_f64 v[76:77], v[24:25], v[6:7], -v[0:1]
	ds_read_b128 v[0:3], v248
	ds_read_b128 v[4:7], v248 offset:832
	ds_read_b128 v[100:103], v248 offset:1664
	;; [unrolled: 1-line block ×11, first 2 shown]
	s_waitcnt lgkmcnt(0)
	v_add_f64 v[8:9], v[0:1], -v[8:9]
	v_add_f64 v[10:11], v[2:3], -v[10:11]
	v_fma_f64 v[0:1], v[0:1], 2.0, -v[8:9]
	v_fma_f64 v[2:3], v[2:3], 2.0, -v[10:11]
	v_add_f64 v[96:97], v[4:5], -v[12:13]
	v_add_f64 v[98:99], v[6:7], -v[14:15]
	;; [unrolled: 1-line block ×4, first 2 shown]
	v_fma_f64 v[4:5], v[4:5], 2.0, -v[96:97]
	v_fma_f64 v[6:7], v[6:7], 2.0, -v[98:99]
	v_fma_f64 v[100:101], v[100:101], 2.0, -v[108:109]
	v_fma_f64 v[102:103], v[102:103], 2.0, -v[110:111]
	; wave barrier
	ds_write_b128 v248, v[0:3]
	ds_write_b128 v248, v[8:11] offset:832
	ds_write_b128 v248, v[4:7] offset:1664
	;; [unrolled: 1-line block ×3, first 2 shown]
	v_accvgpr_read_b32 v0, a109
	ds_write_b128 v0, v[100:103] offset:3328
	ds_write_b128 v0, v[108:111] offset:4160
	v_add_f64 v[0:1], v[104:105], -v[20:21]
	v_add_f64 v[2:3], v[106:107], -v[22:23]
	v_fma_f64 v[4:5], v[104:105], 2.0, -v[0:1]
	v_fma_f64 v[6:7], v[106:107], 2.0, -v[2:3]
	v_accvgpr_read_b32 v8, a111
	ds_write_b128 v8, v[4:7] offset:4992
	ds_write_b128 v8, v[0:3] offset:5824
	v_add_f64 v[0:1], v[112:113], -v[92:93]
	v_add_f64 v[2:3], v[114:115], -v[94:95]
	v_fma_f64 v[4:5], v[112:113], 2.0, -v[0:1]
	v_fma_f64 v[6:7], v[114:115], 2.0, -v[2:3]
	;; [unrolled: 7-line block ×7, first 2 shown]
	v_add_f64 v[8:9], v[136:137], -v[68:69]
	v_add_f64 v[10:11], v[138:139], -v[72:73]
	v_accvgpr_read_b32 v12, a119
	v_fma_f64 v[64:65], v[136:137], 2.0, -v[8:9]
	v_fma_f64 v[66:67], v[138:139], 2.0, -v[10:11]
	v_add_f64 v[68:69], v[140:141], -v[70:71]
	v_add_f64 v[70:71], v[142:143], -v[76:77]
	ds_write_b128 v12, v[4:7] offset:14976
	ds_write_b128 v12, v[0:3] offset:15808
	v_accvgpr_read_b32 v0, a122
	v_fma_f64 v[72:73], v[140:141], 2.0, -v[68:69]
	v_fma_f64 v[74:75], v[142:143], 2.0, -v[70:71]
	ds_write_b128 v0, v[64:67] offset:16640
	ds_write_b128 v0, v[8:11] offset:17472
	v_accvgpr_read_b32 v0, a128
	ds_write_b128 v0, v[72:75] offset:18304
	ds_write_b128 v0, v[68:71] offset:19136
	s_waitcnt lgkmcnt(0)
	; wave barrier
	s_waitcnt lgkmcnt(0)
	ds_read_b128 v[0:3], v248 offset:6656
	ds_read_b128 v[64:67], v248 offset:7488
	;; [unrolled: 1-line block ×4, first 2 shown]
	v_accvgpr_read_b32 v12, a184
	s_waitcnt lgkmcnt(3)
	v_mul_f64 v[132:133], v[210:211], v[2:3]
	v_fmac_f64_e32 v[132:133], v[208:209], v[0:1]
	v_mul_f64 v[0:1], v[210:211], v[0:1]
	v_fma_f64 v[134:135], v[208:209], v[2:3], -v[0:1]
	ds_read_b128 v[0:3], v248 offset:13312
	s_waitcnt lgkmcnt(2)
	v_mul_f64 v[84:85], v[210:211], v[6:7]
	v_fmac_f64_e32 v[84:85], v[208:209], v[4:5]
	v_mul_f64 v[4:5], v[210:211], v[4:5]
	v_fma_f64 v[86:87], v[208:209], v[6:7], -v[4:5]
	ds_read_b128 v[4:7], v248 offset:14144
	;; [unrolled: 6-line block ×3, first 2 shown]
	ds_read_b128 v[68:71], v248 offset:15808
	s_waitcnt lgkmcnt(2)
	v_mul_f64 v[142:143], v[206:207], v[6:7]
	v_fmac_f64_e32 v[142:143], v[204:205], v[4:5]
	v_mul_f64 v[88:89], v[214:215], v[10:11]
	s_waitcnt lgkmcnt(1)
	v_mul_f64 v[90:91], v[202:203], v[2:3]
	v_fmac_f64_e32 v[90:91], v[200:201], v[0:1]
	v_mul_f64 v[0:1], v[202:203], v[0:1]
	v_fma_f64 v[102:103], v[200:201], v[2:3], -v[0:1]
	v_mul_f64 v[0:1], v[214:215], v[64:65]
	v_fma_f64 v[138:139], v[212:213], v[66:67], -v[0:1]
	;; [unrolled: 2-line block ×4, first 2 shown]
	s_waitcnt lgkmcnt(0)
	v_mul_f64 v[0:1], v[206:207], v[68:69]
	v_fma_f64 v[122:123], v[204:205], v[70:71], -v[0:1]
	ds_read_b128 v[0:3], v248 offset:9984
	ds_read_b128 v[4:7], v248 offset:10816
	v_fmac_f64_e32 v[88:89], v[212:213], v[8:9]
	v_accvgpr_read_b32 v8, a188
	v_accvgpr_read_b32 v10, a190
	;; [unrolled: 1-line block ×4, first 2 shown]
	s_waitcnt lgkmcnt(1)
	v_mul_f64 v[92:93], v[10:11], v[2:3]
	v_fmac_f64_e32 v[92:93], v[8:9], v[0:1]
	v_mul_f64 v[0:1], v[10:11], v[0:1]
	v_fma_f64 v[106:107], v[8:9], v[2:3], -v[0:1]
	ds_read_b128 v[0:3], v248 offset:16640
	ds_read_b128 v[8:11], v248 offset:17472
	v_accvgpr_read_b32 v14, a186
	v_accvgpr_read_b32 v15, a187
	;; [unrolled: 1-line block ×3, first 2 shown]
	s_waitcnt lgkmcnt(1)
	v_mul_f64 v[118:119], v[14:15], v[2:3]
	v_fmac_f64_e32 v[118:119], v[12:13], v[0:1]
	v_mul_f64 v[0:1], v[14:15], v[0:1]
	v_fma_f64 v[128:129], v[12:13], v[2:3], -v[0:1]
	v_accvgpr_read_b32 v12, a198
	v_accvgpr_read_b32 v14, a200
	;; [unrolled: 1-line block ×4, first 2 shown]
	v_mul_f64 v[94:95], v[14:15], v[6:7]
	v_fmac_f64_e32 v[94:95], v[12:13], v[4:5]
	v_mul_f64 v[0:1], v[14:15], v[4:5]
	v_accvgpr_read_b32 v2, a194
	v_accvgpr_read_b32 v4, a196
	;; [unrolled: 1-line block ×3, first 2 shown]
	v_fma_f64 v[108:109], v[12:13], v[6:7], -v[0:1]
	v_accvgpr_read_b32 v3, a195
	s_waitcnt lgkmcnt(0)
	v_mul_f64 v[110:111], v[4:5], v[10:11]
	v_mul_f64 v[0:1], v[4:5], v[8:9]
	v_fmac_f64_e32 v[110:111], v[2:3], v[8:9]
	v_fma_f64 v[124:125], v[2:3], v[10:11], -v[0:1]
	ds_read_b128 v[0:3], v248 offset:11648
	ds_read_b128 v[4:7], v248 offset:12480
	v_accvgpr_read_b32 v8, a206
	v_accvgpr_read_b32 v10, a208
	;; [unrolled: 1-line block ×4, first 2 shown]
	s_waitcnt lgkmcnt(1)
	v_mul_f64 v[96:97], v[10:11], v[2:3]
	v_fmac_f64_e32 v[96:97], v[8:9], v[0:1]
	v_mul_f64 v[0:1], v[10:11], v[0:1]
	v_fma_f64 v[112:113], v[8:9], v[2:3], -v[0:1]
	ds_read_b128 v[0:3], v248 offset:18304
	ds_read_b128 v[8:11], v248 offset:19136
	v_accvgpr_read_b32 v12, a202
	v_accvgpr_read_b32 v14, a204
	;; [unrolled: 1-line block ×4, first 2 shown]
	s_waitcnt lgkmcnt(1)
	v_mul_f64 v[120:121], v[14:15], v[2:3]
	v_fmac_f64_e32 v[120:121], v[12:13], v[0:1]
	v_mul_f64 v[0:1], v[14:15], v[0:1]
	v_fma_f64 v[130:131], v[12:13], v[2:3], -v[0:1]
	v_accvgpr_read_b32 v12, a210
	v_accvgpr_read_b32 v14, a212
	;; [unrolled: 1-line block ×4, first 2 shown]
	v_mul_f64 v[98:99], v[14:15], v[6:7]
	ds_read_b128 v[76:79], v248
	ds_read_b128 v[72:75], v248 offset:832
	v_fmac_f64_e32 v[98:99], v[12:13], v[4:5]
	v_mul_f64 v[0:1], v[14:15], v[4:5]
	v_accvgpr_read_b32 v2, a214
	v_accvgpr_read_b32 v4, a216
	;; [unrolled: 1-line block ×3, first 2 shown]
	v_fma_f64 v[114:115], v[12:13], v[6:7], -v[0:1]
	v_accvgpr_read_b32 v3, a215
	s_waitcnt lgkmcnt(2)
	v_mul_f64 v[0:1], v[4:5], v[8:9]
	v_fma_f64 v[126:127], v[2:3], v[10:11], -v[0:1]
	s_waitcnt lgkmcnt(1)
	v_add_f64 v[0:1], v[76:77], v[132:133]
	v_mul_f64 v[136:137], v[214:215], v[66:67]
	v_add_f64 v[80:81], v[0:1], v[140:141]
	v_add_f64 v[0:1], v[78:79], v[134:135]
	;; [unrolled: 1-line block ×4, first 2 shown]
	s_mov_b32 s0, 0xe8584caa
	v_fmac_f64_e32 v[136:137], v[212:213], v[64:65]
	v_mul_f64 v[104:105], v[206:207], v[70:71]
	v_mul_f64 v[116:117], v[4:5], v[10:11]
	v_add_f64 v[82:83], v[0:1], v[144:145]
	v_fmac_f64_e32 v[76:77], -0.5, v[16:17]
	v_add_f64 v[16:17], v[134:135], -v[144:145]
	v_fmac_f64_e32 v[78:79], -0.5, v[18:19]
	v_add_f64 v[18:19], v[132:133], -v[140:141]
	s_mov_b32 s1, 0xbfebb67a
	s_mov_b32 s9, 0x3febb67a
	;; [unrolled: 1-line block ×3, first 2 shown]
	v_fmac_f64_e32 v[104:105], v[204:205], v[68:69]
	v_fmac_f64_e32 v[116:117], v[2:3], v[8:9]
	ds_read_b128 v[68:71], v248 offset:1664
	ds_read_b128 v[64:67], v248 offset:2496
	;; [unrolled: 1-line block ×6, first 2 shown]
	s_waitcnt lgkmcnt(0)
	; wave barrier
	s_waitcnt lgkmcnt(0)
	ds_write_b128 v248, v[80:83]
	v_fma_f64 v[80:81], s[0:1], v[16:17], v[76:77]
	v_fma_f64 v[82:83], s[8:9], v[18:19], v[78:79]
	v_fmac_f64_e32 v[76:77], s[8:9], v[16:17]
	v_fmac_f64_e32 v[78:79], s[0:1], v[18:19]
	v_add_f64 v[16:17], v[72:73], v[136:137]
	ds_write_b128 v248, v[76:79] offset:3328
	v_add_f64 v[76:77], v[16:17], v[142:143]
	v_add_f64 v[16:17], v[74:75], v[138:139]
	;; [unrolled: 1-line block ×5, first 2 shown]
	v_fmac_f64_e32 v[72:73], -0.5, v[16:17]
	v_add_f64 v[16:17], v[138:139], -v[146:147]
	v_fmac_f64_e32 v[74:75], -0.5, v[18:19]
	v_add_f64 v[18:19], v[136:137], -v[142:143]
	ds_write_b128 v248, v[76:79] offset:832
	v_fma_f64 v[76:77], s[0:1], v[16:17], v[72:73]
	v_fma_f64 v[78:79], s[8:9], v[18:19], v[74:75]
	v_fmac_f64_e32 v[72:73], s[8:9], v[16:17]
	v_add_f64 v[16:17], v[68:69], v[84:85]
	ds_write_b128 v248, v[76:79] offset:2496
	v_add_f64 v[76:77], v[16:17], v[90:91]
	v_add_f64 v[16:17], v[70:71], v[86:87]
	;; [unrolled: 1-line block ×4, first 2 shown]
	v_fmac_f64_e32 v[74:75], s[0:1], v[18:19]
	v_fmac_f64_e32 v[70:71], -0.5, v[16:17]
	v_add_f64 v[16:17], v[84:85], -v[90:91]
	ds_write_b128 v248, v[72:75] offset:4160
	v_fma_f64 v[74:75], s[8:9], v[16:17], v[70:71]
	v_fmac_f64_e32 v[70:71], s[0:1], v[16:17]
	v_add_f64 v[16:17], v[64:65], v[88:89]
	v_add_f64 v[18:19], v[84:85], v[90:91]
	;; [unrolled: 1-line block ×4, first 2 shown]
	v_fmac_f64_e32 v[68:69], -0.5, v[18:19]
	v_add_f64 v[18:19], v[86:87], -v[102:103]
	v_add_f64 v[86:87], v[16:17], v[122:123]
	v_add_f64 v[16:17], v[100:101], v[122:123]
	v_fmac_f64_e32 v[66:67], -0.5, v[16:17]
	v_add_f64 v[16:17], v[88:89], -v[104:105]
	ds_write_b128 v248, v[80:83] offset:1664
	v_fma_f64 v[72:73], s[0:1], v[18:19], v[68:69]
	v_fmac_f64_e32 v[68:69], s[8:9], v[18:19]
	v_add_f64 v[18:19], v[88:89], v[104:105]
	v_fma_f64 v[82:83], s[8:9], v[16:17], v[66:67]
	v_fmac_f64_e32 v[66:67], s[0:1], v[16:17]
	v_add_f64 v[16:17], v[12:13], v[92:93]
	v_fmac_f64_e32 v[64:65], -0.5, v[18:19]
	v_add_f64 v[18:19], v[100:101], -v[122:123]
	v_add_f64 v[100:101], v[16:17], v[118:119]
	v_add_f64 v[16:17], v[14:15], v[106:107]
	;; [unrolled: 1-line block ×4, first 2 shown]
	v_fmac_f64_e32 v[14:15], -0.5, v[16:17]
	v_add_f64 v[16:17], v[92:93], -v[118:119]
	v_fma_f64 v[90:91], s[8:9], v[16:17], v[14:15]
	v_fmac_f64_e32 v[14:15], s[0:1], v[16:17]
	v_add_f64 v[16:17], v[8:9], v[94:95]
	v_fma_f64 v[80:81], s[0:1], v[18:19], v[64:65]
	v_fmac_f64_e32 v[64:65], s[8:9], v[18:19]
	v_add_f64 v[18:19], v[92:93], v[118:119]
	v_add_f64 v[104:105], v[16:17], v[110:111]
	;; [unrolled: 1-line block ×3, first 2 shown]
	v_fmac_f64_e32 v[12:13], -0.5, v[18:19]
	v_add_f64 v[18:19], v[106:107], -v[128:129]
	v_add_f64 v[106:107], v[16:17], v[124:125]
	v_add_f64 v[16:17], v[108:109], v[124:125]
	v_fmac_f64_e32 v[10:11], -0.5, v[16:17]
	v_add_f64 v[16:17], v[94:95], -v[110:111]
	v_fma_f64 v[88:89], s[0:1], v[18:19], v[12:13]
	v_fmac_f64_e32 v[12:13], s[8:9], v[18:19]
	v_add_f64 v[18:19], v[94:95], v[110:111]
	v_fma_f64 v[94:95], s[8:9], v[16:17], v[10:11]
	v_fmac_f64_e32 v[10:11], s[0:1], v[16:17]
	v_add_f64 v[16:17], v[4:5], v[96:97]
	v_add_f64 v[122:123], v[16:17], v[120:121]
	;; [unrolled: 1-line block ×3, first 2 shown]
	v_fmac_f64_e32 v[8:9], -0.5, v[18:19]
	v_add_f64 v[18:19], v[108:109], -v[124:125]
	v_add_f64 v[124:125], v[16:17], v[130:131]
	v_add_f64 v[16:17], v[112:113], v[130:131]
	v_fmac_f64_e32 v[6:7], -0.5, v[16:17]
	v_add_f64 v[16:17], v[96:97], -v[120:121]
	v_fma_f64 v[110:111], s[8:9], v[16:17], v[6:7]
	v_fmac_f64_e32 v[6:7], s[0:1], v[16:17]
	v_add_f64 v[16:17], v[0:1], v[98:99]
	v_add_f64 v[118:119], v[16:17], v[116:117]
	v_add_f64 v[16:17], v[2:3], v[114:115]
	v_fma_f64 v[92:93], s[0:1], v[18:19], v[8:9]
	v_fmac_f64_e32 v[8:9], s[8:9], v[18:19]
	v_add_f64 v[18:19], v[96:97], v[120:121]
	v_add_f64 v[120:121], v[16:17], v[126:127]
	;; [unrolled: 1-line block ×3, first 2 shown]
	v_fmac_f64_e32 v[4:5], -0.5, v[18:19]
	v_add_f64 v[18:19], v[112:113], -v[130:131]
	v_fmac_f64_e32 v[2:3], -0.5, v[16:17]
	v_add_f64 v[16:17], v[98:99], -v[116:117]
	v_fma_f64 v[108:109], s[0:1], v[18:19], v[4:5]
	v_fmac_f64_e32 v[4:5], s[8:9], v[18:19]
	v_add_f64 v[18:19], v[98:99], v[116:117]
	v_fma_f64 v[98:99], s[8:9], v[16:17], v[2:3]
	v_fmac_f64_e32 v[2:3], s[0:1], v[16:17]
	v_accvgpr_read_b32 v16, a133
	ds_write_b128 v248, v[76:79] offset:4992
	ds_write_b128 v248, v[72:75] offset:6656
	;; [unrolled: 1-line block ×9, first 2 shown]
	v_accvgpr_read_b32 v12, a135
	v_fmac_f64_e32 v[0:1], -0.5, v[18:19]
	v_add_f64 v[18:19], v[114:115], -v[126:127]
	ds_write_b128 v12, v[104:107] offset:9984
	ds_write_b128 v12, v[92:95] offset:11648
	;; [unrolled: 1-line block ×3, first 2 shown]
	v_accvgpr_read_b32 v8, a192
	v_fma_f64 v[96:97], s[0:1], v[18:19], v[0:1]
	v_fmac_f64_e32 v[0:1], s[8:9], v[18:19]
	ds_write_b128 v8, v[122:125] offset:14976
	ds_write_b128 v8, v[108:111] offset:16640
	;; [unrolled: 1-line block ×3, first 2 shown]
	v_accvgpr_read_b32 v4, a193
	ds_write_b128 v4, v[118:121] offset:14976
	ds_write_b128 v4, v[96:99] offset:16640
	;; [unrolled: 1-line block ×3, first 2 shown]
	s_waitcnt lgkmcnt(0)
	; wave barrier
	s_waitcnt lgkmcnt(0)
	ds_read_b128 v[0:3], v248
	ds_read_b128 v[4:7], v248 offset:832
	ds_read_b128 v[88:91], v248 offset:9984
	;; [unrolled: 1-line block ×17, first 2 shown]
	s_waitcnt lgkmcnt(14)
	v_mul_f64 v[16:17], v[226:227], v[90:91]
	v_mul_f64 v[18:19], v[226:227], v[88:89]
	;; [unrolled: 1-line block ×4, first 2 shown]
	v_fmac_f64_e32 v[16:17], v[224:225], v[88:89]
	v_fma_f64 v[18:19], v[224:225], v[90:91], -v[18:19]
	v_fmac_f64_e32 v[20:21], v[232:233], v[92:93]
	v_fma_f64 v[22:23], v[232:233], v[94:95], -v[22:23]
	ds_read_b128 v[88:91], v248 offset:16640
	ds_read_b128 v[92:95], v248 offset:17472
	s_waitcnt lgkmcnt(13)
	v_mul_f64 v[32:33], v[230:231], v[98:99]
	s_waitcnt lgkmcnt(5)
	v_mul_f64 v[24:25], v[226:227], v[114:115]
	v_mul_f64 v[26:27], v[226:227], v[112:113]
	s_waitcnt lgkmcnt(1)
	v_mul_f64 v[40:41], v[230:231], v[90:91]
	;; [unrolled: 3-line block ×3, first 2 shown]
	v_mul_f64 v[46:47], v[242:243], v[92:93]
	v_fmac_f64_e32 v[40:41], v[228:229], v[88:89]
	v_fma_f64 v[42:43], v[228:229], v[90:91], -v[42:43]
	v_fmac_f64_e32 v[44:45], v[240:241], v[92:93]
	v_fma_f64 v[46:47], v[240:241], v[94:95], -v[46:47]
	ds_read_b128 v[88:91], v248 offset:18304
	ds_read_b128 v[92:95], v248 offset:19136
	v_mul_f64 v[28:29], v[234:235], v[118:119]
	v_fmac_f64_e32 v[32:33], v[228:229], v[96:97]
	v_mul_f64 v[34:35], v[230:231], v[96:97]
	s_waitcnt lgkmcnt(1)
	v_mul_f64 v[144:145], v[246:247], v[90:91]
	v_fmac_f64_e32 v[144:145], v[244:245], v[88:89]
	v_mul_f64 v[88:89], v[246:247], v[88:89]
	v_fma_f64 v[146:147], v[244:245], v[90:91], -v[88:89]
	s_waitcnt lgkmcnt(0)
	v_mul_f64 v[148:149], v[254:255], v[94:95]
	v_mul_f64 v[88:89], v[254:255], v[92:93]
	v_fmac_f64_e32 v[148:149], v[252:253], v[92:93]
	v_fma_f64 v[150:151], v[252:253], v[94:95], -v[88:89]
	ds_read_b128 v[88:91], v248 offset:8320
	ds_read_b128 v[92:95], v248 offset:9152
	v_mul_f64 v[96:97], v[246:247], v[104:105]
	v_fmac_f64_e32 v[24:25], v[224:225], v[112:113]
	v_fma_f64 v[26:27], v[224:225], v[114:115], -v[26:27]
	v_fmac_f64_e32 v[28:29], v[232:233], v[116:117]
	v_mul_f64 v[30:31], v[234:235], v[116:117]
	v_mul_f64 v[36:37], v[242:243], v[102:103]
	;; [unrolled: 1-line block ×4, first 2 shown]
	v_fma_f64 v[114:115], v[244:245], v[106:107], -v[96:97]
	v_mul_f64 v[116:117], v[254:255], v[110:111]
	v_mul_f64 v[96:97], v[254:255], v[108:109]
	v_fma_f64 v[30:31], v[232:233], v[118:119], -v[30:31]
	v_fma_f64 v[34:35], v[228:229], v[98:99], -v[34:35]
	v_fmac_f64_e32 v[36:37], v[240:241], v[100:101]
	v_fma_f64 v[38:39], v[240:241], v[102:103], -v[38:39]
	v_fmac_f64_e32 v[112:113], v[244:245], v[104:105]
	v_fmac_f64_e32 v[116:117], v[252:253], v[108:109]
	v_fma_f64 v[118:119], v[252:253], v[110:111], -v[96:97]
	v_add_f64 v[96:97], v[0:1], -v[16:17]
	v_add_f64 v[98:99], v[2:3], -v[18:19]
	;; [unrolled: 1-line block ×20, first 2 shown]
	s_waitcnt lgkmcnt(1)
	v_add_f64 v[144:145], v[88:89], -v[144:145]
	v_add_f64 v[146:147], v[90:91], -v[146:147]
	s_waitcnt lgkmcnt(0)
	v_add_f64 v[148:149], v[92:93], -v[148:149]
	v_add_f64 v[150:151], v[94:95], -v[150:151]
	v_accvgpr_read_b32 v18, a218
	v_fma_f64 v[0:1], v[0:1], 2.0, -v[96:97]
	v_fma_f64 v[2:3], v[2:3], 2.0, -v[98:99]
	;; [unrolled: 1-line block ×24, first 2 shown]
	v_accvgpr_read_b32 v20, a220
	v_accvgpr_read_b32 v21, a221
	s_waitcnt lgkmcnt(0)
	; wave barrier
	ds_write_b128 v248, v[0:3]
	ds_write_b128 v248, v[96:99] offset:4992
	ds_write_b128 v248, v[4:7] offset:832
	;; [unrolled: 1-line block ×23, first 2 shown]
	s_waitcnt lgkmcnt(0)
	; wave barrier
	s_waitcnt lgkmcnt(0)
	ds_read_b128 v[0:3], v248
	ds_read_b128 v[4:7], v248 offset:832
	ds_read_b128 v[82:85], v248 offset:9984
	;; [unrolled: 1-line block ×21, first 2 shown]
	v_accvgpr_read_b32 v19, a219
	s_waitcnt lgkmcnt(14)
	v_mul_f64 v[24:25], v[20:21], v[84:85]
	v_mul_f64 v[16:17], v[20:21], v[82:83]
	v_fmac_f64_e32 v[24:25], v[18:19], v[82:83]
	v_fma_f64 v[26:27], v[18:19], v[84:85], -v[16:17]
	v_accvgpr_read_b32 v18, a222
	v_accvgpr_read_b32 v36, a226
	;; [unrolled: 1-line block ×8, first 2 shown]
	v_mul_f64 v[28:29], v[20:21], v[88:89]
	v_mul_f64 v[16:17], v[20:21], v[86:87]
	v_accvgpr_read_b32 v37, a227
	v_mul_f64 v[32:33], v[38:39], v[92:93]
	v_mul_f64 v[34:35], v[38:39], v[90:91]
	v_accvgpr_read_b32 v42, a232
	v_accvgpr_read_b32 v43, a233
	;; [unrolled: 1-line block ×3, first 2 shown]
	v_fmac_f64_e32 v[28:29], v[18:19], v[86:87]
	v_fma_f64 v[30:31], v[18:19], v[88:89], -v[16:17]
	ds_read_b128 v[16:19], v248 offset:18304
	ds_read_b128 v[20:23], v248 offset:19136
	v_fmac_f64_e32 v[32:33], v[36:37], v[90:91]
	v_fma_f64 v[34:35], v[36:37], v[92:93], -v[34:35]
	v_accvgpr_read_b32 v41, a231
	v_mul_f64 v[36:37], v[42:43], v[96:97]
	v_mul_f64 v[38:39], v[42:43], v[94:95]
	v_accvgpr_read_b32 v46, a236
	v_accvgpr_read_b32 v47, a237
	v_accvgpr_read_b32 v82, a238
	v_fmac_f64_e32 v[36:37], v[40:41], v[94:95]
	v_fma_f64 v[38:39], v[40:41], v[96:97], -v[38:39]
	v_accvgpr_read_b32 v45, a235
	s_waitcnt lgkmcnt(13)
	v_mul_f64 v[40:41], v[46:47], v[100:101]
	v_mul_f64 v[42:43], v[46:47], v[98:99]
	v_accvgpr_read_b32 v84, a240
	v_accvgpr_read_b32 v85, a241
	v_accvgpr_read_b32 v86, a242
	v_fmac_f64_e32 v[40:41], v[44:45], v[98:99]
	v_fma_f64 v[42:43], v[44:45], v[100:101], -v[42:43]
	v_accvgpr_read_b32 v83, a239
	s_waitcnt lgkmcnt(12)
	;; [unrolled: 9-line block ×3, first 2 shown]
	v_mul_f64 v[82:83], v[88:89], v[112:113]
	v_mul_f64 v[84:85], v[88:89], v[110:111]
	v_accvgpr_read_b32 v92, a248
	v_accvgpr_read_b32 v93, a249
	v_fmac_f64_e32 v[82:83], v[86:87], v[110:111]
	v_fma_f64 v[84:85], v[86:87], v[112:113], -v[84:85]
	v_accvgpr_read_b32 v91, a247
	s_waitcnt lgkmcnt(8)
	v_mul_f64 v[86:87], v[92:93], v[116:117]
	v_mul_f64 v[88:89], v[92:93], v[114:115]
	s_waitcnt lgkmcnt(1)
	v_mul_f64 v[98:99], v[58:59], v[18:19]
	v_fmac_f64_e32 v[86:87], v[90:91], v[114:115]
	v_fma_f64 v[88:89], v[90:91], v[116:117], -v[88:89]
	v_mul_f64 v[90:91], v[50:51], v[128:129]
	v_mul_f64 v[50:51], v[50:51], v[126:127]
	v_fmac_f64_e32 v[98:99], v[56:57], v[16:17]
	v_mul_f64 v[16:17], v[58:59], v[16:17]
	v_fmac_f64_e32 v[90:91], v[48:49], v[126:127]
	v_fma_f64 v[92:93], v[48:49], v[128:129], -v[50:51]
	v_mul_f64 v[94:95], v[54:55], v[132:133]
	v_mul_f64 v[48:49], v[54:55], v[130:131]
	v_fma_f64 v[100:101], v[56:57], v[18:19], -v[16:17]
	s_waitcnt lgkmcnt(0)
	v_mul_f64 v[102:103], v[62:63], v[22:23]
	v_mul_f64 v[16:17], v[62:63], v[20:21]
	v_fmac_f64_e32 v[94:95], v[52:53], v[130:131]
	v_fma_f64 v[96:97], v[52:53], v[132:133], -v[48:49]
	v_fmac_f64_e32 v[102:103], v[60:61], v[20:21]
	v_fma_f64 v[104:105], v[60:61], v[22:23], -v[16:17]
	v_add_f64 v[16:17], v[0:1], -v[24:25]
	v_add_f64 v[18:19], v[2:3], -v[26:27]
	;; [unrolled: 1-line block ×8, first 2 shown]
	v_fma_f64 v[0:1], v[0:1], 2.0, -v[16:17]
	v_fma_f64 v[2:3], v[2:3], 2.0, -v[18:19]
	v_add_f64 v[20:21], v[4:5], -v[28:29]
	v_add_f64 v[22:23], v[6:7], -v[30:31]
	;; [unrolled: 1-line block ×4, first 2 shown]
	v_fma_f64 v[36:37], v[64:65], 2.0, -v[32:33]
	v_fma_f64 v[38:39], v[66:67], 2.0, -v[34:35]
	v_add_f64 v[40:41], v[68:69], -v[44:45]
	v_add_f64 v[42:43], v[70:71], -v[46:47]
	v_fma_f64 v[52:53], v[72:73], 2.0, -v[48:49]
	v_fma_f64 v[54:55], v[74:75], 2.0, -v[50:51]
	v_add_f64 v[56:57], v[106:107], -v[86:87]
	v_add_f64 v[58:59], v[108:109], -v[88:89]
	;; [unrolled: 1-line block ×10, first 2 shown]
	v_fma_f64 v[4:5], v[4:5], 2.0, -v[20:21]
	v_fma_f64 v[6:7], v[6:7], 2.0, -v[22:23]
	v_fma_f64 v[8:9], v[8:9], 2.0, -v[24:25]
	v_fma_f64 v[10:11], v[10:11], 2.0, -v[26:27]
	v_fma_f64 v[12:13], v[12:13], 2.0, -v[28:29]
	v_fma_f64 v[14:15], v[14:15], 2.0, -v[30:31]
	v_fma_f64 v[44:45], v[68:69], 2.0, -v[40:41]
	v_fma_f64 v[46:47], v[70:71], 2.0, -v[42:43]
	v_fma_f64 v[60:61], v[106:107], 2.0, -v[56:57]
	v_fma_f64 v[62:63], v[108:109], 2.0, -v[58:59]
	v_fma_f64 v[68:69], v[118:119], 2.0, -v[64:65]
	v_fma_f64 v[70:71], v[120:121], 2.0, -v[66:67]
	v_fma_f64 v[82:83], v[122:123], 2.0, -v[72:73]
	v_fma_f64 v[84:85], v[124:125], 2.0, -v[74:75]
	v_fma_f64 v[90:91], v[134:135], 2.0, -v[86:87]
	v_fma_f64 v[92:93], v[136:137], 2.0, -v[88:89]
	v_fma_f64 v[98:99], v[138:139], 2.0, -v[94:95]
	v_fma_f64 v[100:101], v[140:141], 2.0, -v[96:97]
	ds_write_b128 v248, v[0:3]
	ds_write_b128 v248, v[16:19] offset:9984
	ds_write_b128 v248, v[4:7] offset:832
	;; [unrolled: 1-line block ×23, first 2 shown]
	s_waitcnt lgkmcnt(0)
	; wave barrier
	s_waitcnt lgkmcnt(0)
	ds_read_b128 v[0:3], v248
	v_accvgpr_read_b32 v152, a30
	v_mad_u64_u32 v[78:79], s[0:1], s6, v152, 0
	v_mov_b32_e32 v80, v79
	v_accvgpr_read_b32 v10, a18
	v_mad_u64_u32 v[4:5], s[0:1], s7, v152, v[80:81]
	v_accvgpr_read_b32 v12, a20
	v_accvgpr_read_b32 v13, a21
	v_mov_b32_e32 v79, v4
	ds_read_b128 v[4:7], v248 offset:832
	v_accvgpr_read_b32 v11, a19
	s_waitcnt lgkmcnt(1)
	v_mul_f64 v[8:9], v[12:13], v[2:3]
	v_fmac_f64_e32 v[8:9], v[10:11], v[0:1]
	s_mov_b32 s0, 0x1a41a41a
	v_mul_f64 v[0:1], v[12:13], v[0:1]
	v_accvgpr_read_b32 v12, a0
	v_mov_b32_e32 v76, s2
	v_mov_b32_e32 v77, s3
	s_mov_b32 s1, 0x3f4a41a4
	v_fma_f64 v[0:1], v[10:11], v[2:3], -v[0:1]
	v_mad_u64_u32 v[2:3], s[2:3], s4, v12, 0
	v_mul_f64 v[10:11], v[0:1], s[0:1]
	v_mov_b32_e32 v0, v3
	v_mad_u64_u32 v[0:1], s[2:3], s5, v12, v[0:1]
	ds_read_b128 v[12:15], v248 offset:9984
	v_mov_b32_e32 v3, v0
	v_lshl_add_u64 v[0:1], v[78:79], 4, v[76:77]
	v_accvgpr_read_b32 v25, a9
	v_mul_f64 v[8:9], v[8:9], s[0:1]
	v_lshl_add_u64 v[20:21], v[2:3], 4, v[0:1]
	v_accvgpr_read_b32 v24, a8
	global_store_dwordx4 v[20:21], v[8:11], off
	ds_read_b128 v[8:11], v248 offset:10816
	v_accvgpr_read_b32 v23, a7
	v_accvgpr_read_b32 v22, a6
	s_waitcnt lgkmcnt(1)
	v_mul_f64 v[2:3], v[24:25], v[14:15]
	v_fmac_f64_e32 v[2:3], v[22:23], v[12:13]
	v_mul_f64 v[16:17], v[2:3], s[0:1]
	v_mul_f64 v[2:3], v[24:25], v[12:13]
	v_fma_f64 v[2:3], v[22:23], v[14:15], -v[2:3]
	v_mul_f64 v[18:19], v[2:3], s[0:1]
	v_mov_b32_e32 v2, 0x2700
	v_mad_u64_u32 v[20:21], s[2:3], s4, v2, v[20:21]
	s_mul_i32 s2, s5, 0x2700
	s_nop 0
	v_add_u32_e32 v21, s2, v21
	global_store_dwordx4 v[20:21], v[16:19], off
	v_accvgpr_read_b32 v14, a32
	v_accvgpr_read_b32 v15, a33
	v_accvgpr_read_b32 v16, a34
	v_accvgpr_read_b32 v17, a35
	v_mul_f64 v[12:13], v[16:17], v[6:7]
	v_fmac_f64_e32 v[12:13], v[14:15], v[4:5]
	v_mul_f64 v[4:5], v[16:17], v[4:5]
	v_mov_b32_e32 v3, 0xffffdc40
	s_mul_i32 s3, s5, 0xffffdc40
	v_fma_f64 v[4:5], v[14:15], v[6:7], -v[4:5]
	v_mad_u64_u32 v[16:17], s[6:7], s4, v3, v[20:21]
	s_sub_i32 s3, s3, s4
	v_mul_f64 v[12:13], v[12:13], s[0:1]
	v_mul_f64 v[14:15], v[4:5], s[0:1]
	v_add_u32_e32 v17, s3, v17
	global_store_dwordx4 v[16:17], v[12:15], off
	v_mad_u64_u32 v[16:17], s[6:7], s4, v2, v[16:17]
	s_nop 0
	v_accvgpr_read_b32 v12, a40
	v_accvgpr_read_b32 v14, a42
	;; [unrolled: 1-line block ×4, first 2 shown]
	s_waitcnt lgkmcnt(0)
	v_mul_f64 v[4:5], v[14:15], v[10:11]
	v_mul_f64 v[6:7], v[14:15], v[8:9]
	v_fmac_f64_e32 v[4:5], v[12:13], v[8:9]
	v_fma_f64 v[6:7], v[12:13], v[10:11], -v[6:7]
	ds_read_b128 v[8:11], v248 offset:1664
	v_accvgpr_read_b32 v18, a22
	v_mul_f64 v[4:5], v[4:5], s[0:1]
	v_mul_f64 v[6:7], v[6:7], s[0:1]
	v_add_u32_e32 v17, s2, v17
	v_accvgpr_read_b32 v20, a24
	v_accvgpr_read_b32 v21, a25
	global_store_dwordx4 v[16:17], v[4:7], off
	ds_read_b128 v[4:7], v248 offset:2496
	v_accvgpr_read_b32 v19, a23
	s_waitcnt lgkmcnt(1)
	v_mul_f64 v[12:13], v[20:21], v[10:11]
	v_fmac_f64_e32 v[12:13], v[18:19], v[8:9]
	v_mul_f64 v[8:9], v[20:21], v[8:9]
	v_fma_f64 v[8:9], v[18:19], v[10:11], -v[8:9]
	v_mul_f64 v[14:15], v[8:9], s[0:1]
	ds_read_b128 v[8:11], v248 offset:11648
	v_mad_u64_u32 v[20:21], s[6:7], s4, v3, v[16:17]
	v_accvgpr_read_b32 v25, a13
	v_mul_f64 v[12:13], v[12:13], s[0:1]
	v_add_u32_e32 v21, s3, v21
	v_accvgpr_read_b32 v24, a12
	global_store_dwordx4 v[20:21], v[12:15], off
	ds_read_b128 v[12:15], v248 offset:12480
	v_accvgpr_read_b32 v23, a11
	v_accvgpr_read_b32 v22, a10
	s_waitcnt lgkmcnt(1)
	v_mul_f64 v[16:17], v[24:25], v[10:11]
	v_fmac_f64_e32 v[16:17], v[22:23], v[8:9]
	v_mul_f64 v[8:9], v[24:25], v[8:9]
	v_fma_f64 v[8:9], v[22:23], v[10:11], -v[8:9]
	v_mad_u64_u32 v[20:21], s[6:7], s4, v2, v[20:21]
	v_mul_f64 v[16:17], v[16:17], s[0:1]
	v_mul_f64 v[18:19], v[8:9], s[0:1]
	v_add_u32_e32 v21, s2, v21
	global_store_dwordx4 v[20:21], v[16:19], off
	v_accvgpr_read_b32 v25, a17
	v_accvgpr_read_b32 v24, a16
	;; [unrolled: 1-line block ×6, first 2 shown]
	v_mul_f64 v[8:9], v[18:19], v[6:7]
	v_fmac_f64_e32 v[8:9], v[16:17], v[4:5]
	v_mul_f64 v[4:5], v[18:19], v[4:5]
	v_fma_f64 v[4:5], v[16:17], v[6:7], -v[4:5]
	v_mad_u64_u32 v[16:17], s[6:7], s4, v3, v[20:21]
	v_mul_f64 v[8:9], v[8:9], s[0:1]
	v_mul_f64 v[10:11], v[4:5], s[0:1]
	v_add_u32_e32 v17, s3, v17
	global_store_dwordx4 v[16:17], v[8:11], off
	v_mad_u64_u32 v[16:17], s[6:7], s4, v2, v[16:17]
	s_nop 0
	v_accvgpr_read_b32 v8, a36
	v_accvgpr_read_b32 v10, a38
	v_accvgpr_read_b32 v11, a39
	v_accvgpr_read_b32 v9, a37
	s_waitcnt lgkmcnt(0)
	v_mul_f64 v[4:5], v[10:11], v[14:15]
	v_mul_f64 v[6:7], v[10:11], v[12:13]
	v_fmac_f64_e32 v[4:5], v[8:9], v[12:13]
	v_fma_f64 v[6:7], v[8:9], v[14:15], -v[6:7]
	ds_read_b128 v[8:11], v248 offset:3328
	v_accvgpr_read_b32 v21, a5
	v_mul_f64 v[4:5], v[4:5], s[0:1]
	v_mul_f64 v[6:7], v[6:7], s[0:1]
	v_add_u32_e32 v17, s2, v17
	v_accvgpr_read_b32 v20, a4
	global_store_dwordx4 v[16:17], v[4:7], off
	ds_read_b128 v[4:7], v248 offset:4160
	v_accvgpr_read_b32 v19, a3
	v_accvgpr_read_b32 v18, a2
	s_waitcnt lgkmcnt(1)
	v_mul_f64 v[12:13], v[20:21], v[10:11]
	v_fmac_f64_e32 v[12:13], v[18:19], v[8:9]
	v_mul_f64 v[8:9], v[20:21], v[8:9]
	v_fma_f64 v[8:9], v[18:19], v[10:11], -v[8:9]
	v_mul_f64 v[14:15], v[8:9], s[0:1]
	ds_read_b128 v[8:11], v248 offset:13312
	v_mad_u64_u32 v[20:21], s[6:7], s4, v3, v[16:17]
	v_mul_f64 v[12:13], v[12:13], s[0:1]
	v_add_u32_e32 v21, s3, v21
	global_store_dwordx4 v[20:21], v[12:15], off
	ds_read_b128 v[12:15], v248 offset:14144
	v_accvgpr_read_b32 v23, a15
	v_accvgpr_read_b32 v22, a14
	s_waitcnt lgkmcnt(1)
	v_mul_f64 v[16:17], v[24:25], v[10:11]
	v_fmac_f64_e32 v[16:17], v[22:23], v[8:9]
	v_mul_f64 v[8:9], v[24:25], v[8:9]
	v_fma_f64 v[8:9], v[22:23], v[10:11], -v[8:9]
	v_accvgpr_read_b32 v11, a1
	v_mul_f64 v[18:19], v[8:9], s[0:1]
	v_mad_u64_u32 v[8:9], s[6:7], s4, v11, 0
	v_mov_b32_e32 v10, v9
	v_mad_u64_u32 v[10:11], s[6:7], s5, v11, v[10:11]
	v_mov_b32_e32 v9, v10
	v_mul_f64 v[16:17], v[16:17], s[0:1]
	v_lshl_add_u64 v[0:1], v[8:9], 4, v[0:1]
	global_store_dwordx4 v[0:1], v[16:19], off
	s_mulk_i32 s5, 0x340
	s_nop 0
	v_accvgpr_read_b32 v16, a68
	v_accvgpr_read_b32 v18, a70
	v_accvgpr_read_b32 v19, a71
	v_accvgpr_read_b32 v17, a69
	v_mul_f64 v[0:1], v[18:19], v[6:7]
	v_fmac_f64_e32 v[0:1], v[16:17], v[4:5]
	v_mul_f64 v[8:9], v[0:1], s[0:1]
	v_mul_f64 v[0:1], v[18:19], v[4:5]
	v_fma_f64 v[0:1], v[16:17], v[6:7], -v[0:1]
	v_mul_f64 v[10:11], v[0:1], s[0:1]
	v_mov_b32_e32 v0, 0x340
	v_mad_u64_u32 v[0:1], s[6:7], s4, v0, v[20:21]
	v_add_u32_e32 v1, s5, v1
	global_store_dwordx4 v[0:1], v[8:11], off
	v_mad_u64_u32 v[0:1], s[6:7], s4, v2, v[0:1]
	s_nop 0
	v_accvgpr_read_b32 v8, a96
	v_accvgpr_read_b32 v10, a98
	v_accvgpr_read_b32 v11, a99
	v_accvgpr_read_b32 v9, a97
	s_waitcnt lgkmcnt(0)
	v_mul_f64 v[4:5], v[10:11], v[14:15]
	v_mul_f64 v[6:7], v[10:11], v[12:13]
	v_fmac_f64_e32 v[4:5], v[8:9], v[12:13]
	v_fma_f64 v[6:7], v[8:9], v[14:15], -v[6:7]
	ds_read_b128 v[8:11], v248 offset:4992
	v_accvgpr_read_b32 v14, a64
	v_mul_f64 v[4:5], v[4:5], s[0:1]
	v_mul_f64 v[6:7], v[6:7], s[0:1]
	v_add_u32_e32 v1, s2, v1
	v_accvgpr_read_b32 v16, a66
	v_accvgpr_read_b32 v17, a67
	global_store_dwordx4 v[0:1], v[4:7], off
	ds_read_b128 v[4:7], v248 offset:5824
	v_accvgpr_read_b32 v15, a65
	s_waitcnt lgkmcnt(1)
	v_mul_f64 v[12:13], v[16:17], v[10:11]
	v_fmac_f64_e32 v[12:13], v[14:15], v[8:9]
	v_mul_f64 v[8:9], v[16:17], v[8:9]
	v_fma_f64 v[8:9], v[14:15], v[10:11], -v[8:9]
	v_mul_f64 v[14:15], v[8:9], s[0:1]
	ds_read_b128 v[8:11], v248 offset:14976
	v_mad_u64_u32 v[0:1], s[6:7], s4, v3, v[0:1]
	v_accvgpr_read_b32 v18, a48
	v_mul_f64 v[12:13], v[12:13], s[0:1]
	v_add_u32_e32 v1, s3, v1
	v_accvgpr_read_b32 v20, a50
	v_accvgpr_read_b32 v21, a51
	global_store_dwordx4 v[0:1], v[12:15], off
	ds_read_b128 v[12:15], v248 offset:15808
	v_accvgpr_read_b32 v19, a49
	s_waitcnt lgkmcnt(1)
	v_mul_f64 v[16:17], v[20:21], v[10:11]
	v_fmac_f64_e32 v[16:17], v[18:19], v[8:9]
	v_mul_f64 v[8:9], v[20:21], v[8:9]
	v_fma_f64 v[8:9], v[18:19], v[10:11], -v[8:9]
	v_mad_u64_u32 v[0:1], s[6:7], s4, v2, v[0:1]
	v_mul_f64 v[16:17], v[16:17], s[0:1]
	v_mul_f64 v[18:19], v[8:9], s[0:1]
	v_add_u32_e32 v1, s2, v1
	global_store_dwordx4 v[0:1], v[16:19], off
	v_mad_u64_u32 v[0:1], s[6:7], s4, v3, v[0:1]
	s_nop 0
	v_accvgpr_read_b32 v16, a72
	v_accvgpr_read_b32 v18, a74
	v_accvgpr_read_b32 v19, a75
	v_accvgpr_read_b32 v17, a73
	v_mul_f64 v[8:9], v[18:19], v[6:7]
	v_fmac_f64_e32 v[8:9], v[16:17], v[4:5]
	v_mul_f64 v[4:5], v[18:19], v[4:5]
	v_fma_f64 v[4:5], v[16:17], v[6:7], -v[4:5]
	v_mul_f64 v[8:9], v[8:9], s[0:1]
	v_mul_f64 v[10:11], v[4:5], s[0:1]
	v_add_u32_e32 v1, s3, v1
	global_store_dwordx4 v[0:1], v[8:11], off
	v_mad_u64_u32 v[0:1], s[6:7], s4, v2, v[0:1]
	s_nop 0
	v_accvgpr_read_b32 v8, a84
	v_accvgpr_read_b32 v10, a86
	v_accvgpr_read_b32 v11, a87
	v_accvgpr_read_b32 v9, a85
	s_waitcnt lgkmcnt(0)
	v_mul_f64 v[4:5], v[10:11], v[14:15]
	v_mul_f64 v[6:7], v[10:11], v[12:13]
	v_fmac_f64_e32 v[4:5], v[8:9], v[12:13]
	v_fma_f64 v[6:7], v[8:9], v[14:15], -v[6:7]
	ds_read_b128 v[8:11], v248 offset:6656
	v_accvgpr_read_b32 v14, a52
	v_mul_f64 v[4:5], v[4:5], s[0:1]
	v_mul_f64 v[6:7], v[6:7], s[0:1]
	v_add_u32_e32 v1, s2, v1
	v_accvgpr_read_b32 v16, a54
	v_accvgpr_read_b32 v17, a55
	global_store_dwordx4 v[0:1], v[4:7], off
	ds_read_b128 v[4:7], v248 offset:7488
	v_accvgpr_read_b32 v15, a53
	s_waitcnt lgkmcnt(1)
	v_mul_f64 v[12:13], v[16:17], v[10:11]
	v_fmac_f64_e32 v[12:13], v[14:15], v[8:9]
	v_mul_f64 v[8:9], v[16:17], v[8:9]
	v_fma_f64 v[8:9], v[14:15], v[10:11], -v[8:9]
	v_mul_f64 v[14:15], v[8:9], s[0:1]
	ds_read_b128 v[8:11], v248 offset:16640
	v_mad_u64_u32 v[0:1], s[6:7], s4, v3, v[0:1]
	v_accvgpr_read_b32 v18, a56
	v_mul_f64 v[12:13], v[12:13], s[0:1]
	v_add_u32_e32 v1, s3, v1
	v_accvgpr_read_b32 v20, a58
	v_accvgpr_read_b32 v21, a59
	global_store_dwordx4 v[0:1], v[12:15], off
	ds_read_b128 v[12:15], v248 offset:17472
	v_accvgpr_read_b32 v19, a57
	s_waitcnt lgkmcnt(1)
	v_mul_f64 v[16:17], v[20:21], v[10:11]
	v_fmac_f64_e32 v[16:17], v[18:19], v[8:9]
	v_mul_f64 v[8:9], v[20:21], v[8:9]
	v_fma_f64 v[8:9], v[18:19], v[10:11], -v[8:9]
	v_mad_u64_u32 v[0:1], s[6:7], s4, v2, v[0:1]
	v_mul_f64 v[16:17], v[16:17], s[0:1]
	v_mul_f64 v[18:19], v[8:9], s[0:1]
	v_add_u32_e32 v1, s2, v1
	global_store_dwordx4 v[0:1], v[16:19], off
	v_mad_u64_u32 v[0:1], s[6:7], s4, v3, v[0:1]
	s_nop 0
	v_accvgpr_read_b32 v16, a80
	v_accvgpr_read_b32 v18, a82
	v_accvgpr_read_b32 v19, a83
	v_accvgpr_read_b32 v17, a81
	v_mul_f64 v[8:9], v[18:19], v[6:7]
	v_fmac_f64_e32 v[8:9], v[16:17], v[4:5]
	v_mul_f64 v[4:5], v[18:19], v[4:5]
	v_fma_f64 v[4:5], v[16:17], v[6:7], -v[4:5]
	v_mul_f64 v[8:9], v[8:9], s[0:1]
	v_mul_f64 v[10:11], v[4:5], s[0:1]
	;; [unrolled: 61-line block ×3, first 2 shown]
	v_add_u32_e32 v1, s3, v1
	global_store_dwordx4 v[0:1], v[8:11], off
	s_nop 1
	v_accvgpr_read_b32 v8, a88
	v_accvgpr_read_b32 v10, a90
	;; [unrolled: 1-line block ×4, first 2 shown]
	s_waitcnt lgkmcnt(0)
	v_mul_f64 v[4:5], v[10:11], v[14:15]
	v_mul_f64 v[6:7], v[10:11], v[12:13]
	v_fmac_f64_e32 v[4:5], v[8:9], v[12:13]
	v_fma_f64 v[6:7], v[8:9], v[14:15], -v[6:7]
	v_mul_f64 v[4:5], v[4:5], s[0:1]
	v_mul_f64 v[6:7], v[6:7], s[0:1]
	v_mad_u64_u32 v[0:1], s[0:1], s4, v2, v[0:1]
	v_add_u32_e32 v1, s2, v1
	global_store_dwordx4 v[0:1], v[4:7], off
.LBB0_10:
	s_endpgm
	.section	.rodata,"a",@progbits
	.p2align	6, 0x0
	.amdhsa_kernel bluestein_single_fwd_len1248_dim1_dp_op_CI_CI
		.amdhsa_group_segment_fixed_size 19968
		.amdhsa_private_segment_fixed_size 0
		.amdhsa_kernarg_size 104
		.amdhsa_user_sgpr_count 2
		.amdhsa_user_sgpr_dispatch_ptr 0
		.amdhsa_user_sgpr_queue_ptr 0
		.amdhsa_user_sgpr_kernarg_segment_ptr 1
		.amdhsa_user_sgpr_dispatch_id 0
		.amdhsa_user_sgpr_kernarg_preload_length 0
		.amdhsa_user_sgpr_kernarg_preload_offset 0
		.amdhsa_user_sgpr_private_segment_size 0
		.amdhsa_uses_dynamic_stack 0
		.amdhsa_enable_private_segment 0
		.amdhsa_system_sgpr_workgroup_id_x 1
		.amdhsa_system_sgpr_workgroup_id_y 0
		.amdhsa_system_sgpr_workgroup_id_z 0
		.amdhsa_system_sgpr_workgroup_info 0
		.amdhsa_system_vgpr_workitem_id 0
		.amdhsa_next_free_vgpr 507
		.amdhsa_next_free_sgpr 50
		.amdhsa_accum_offset 256
		.amdhsa_reserve_vcc 1
		.amdhsa_float_round_mode_32 0
		.amdhsa_float_round_mode_16_64 0
		.amdhsa_float_denorm_mode_32 3
		.amdhsa_float_denorm_mode_16_64 3
		.amdhsa_dx10_clamp 1
		.amdhsa_ieee_mode 1
		.amdhsa_fp16_overflow 0
		.amdhsa_tg_split 0
		.amdhsa_exception_fp_ieee_invalid_op 0
		.amdhsa_exception_fp_denorm_src 0
		.amdhsa_exception_fp_ieee_div_zero 0
		.amdhsa_exception_fp_ieee_overflow 0
		.amdhsa_exception_fp_ieee_underflow 0
		.amdhsa_exception_fp_ieee_inexact 0
		.amdhsa_exception_int_div_zero 0
	.end_amdhsa_kernel
	.text
.Lfunc_end0:
	.size	bluestein_single_fwd_len1248_dim1_dp_op_CI_CI, .Lfunc_end0-bluestein_single_fwd_len1248_dim1_dp_op_CI_CI
                                        ; -- End function
	.section	.AMDGPU.csdata,"",@progbits
; Kernel info:
; codeLenInByte = 41628
; NumSgprs: 56
; NumVgprs: 256
; NumAgprs: 251
; TotalNumVgprs: 507
; ScratchSize: 0
; MemoryBound: 0
; FloatMode: 240
; IeeeMode: 1
; LDSByteSize: 19968 bytes/workgroup (compile time only)
; SGPRBlocks: 6
; VGPRBlocks: 63
; NumSGPRsForWavesPerEU: 56
; NumVGPRsForWavesPerEU: 507
; AccumOffset: 256
; Occupancy: 1
; WaveLimiterHint : 1
; COMPUTE_PGM_RSRC2:SCRATCH_EN: 0
; COMPUTE_PGM_RSRC2:USER_SGPR: 2
; COMPUTE_PGM_RSRC2:TRAP_HANDLER: 0
; COMPUTE_PGM_RSRC2:TGID_X_EN: 1
; COMPUTE_PGM_RSRC2:TGID_Y_EN: 0
; COMPUTE_PGM_RSRC2:TGID_Z_EN: 0
; COMPUTE_PGM_RSRC2:TIDIG_COMP_CNT: 0
; COMPUTE_PGM_RSRC3_GFX90A:ACCUM_OFFSET: 63
; COMPUTE_PGM_RSRC3_GFX90A:TG_SPLIT: 0
	.text
	.p2alignl 6, 3212836864
	.fill 256, 4, 3212836864
	.type	__hip_cuid_a5098cc1c8173166,@object ; @__hip_cuid_a5098cc1c8173166
	.section	.bss,"aw",@nobits
	.globl	__hip_cuid_a5098cc1c8173166
__hip_cuid_a5098cc1c8173166:
	.byte	0                               ; 0x0
	.size	__hip_cuid_a5098cc1c8173166, 1

	.ident	"AMD clang version 19.0.0git (https://github.com/RadeonOpenCompute/llvm-project roc-6.4.0 25133 c7fe45cf4b819c5991fe208aaa96edf142730f1d)"
	.section	".note.GNU-stack","",@progbits
	.addrsig
	.addrsig_sym __hip_cuid_a5098cc1c8173166
	.amdgpu_metadata
---
amdhsa.kernels:
  - .agpr_count:     251
    .args:
      - .actual_access:  read_only
        .address_space:  global
        .offset:         0
        .size:           8
        .value_kind:     global_buffer
      - .actual_access:  read_only
        .address_space:  global
        .offset:         8
        .size:           8
        .value_kind:     global_buffer
      - .actual_access:  read_only
        .address_space:  global
        .offset:         16
        .size:           8
        .value_kind:     global_buffer
      - .actual_access:  read_only
        .address_space:  global
        .offset:         24
        .size:           8
        .value_kind:     global_buffer
      - .actual_access:  read_only
        .address_space:  global
        .offset:         32
        .size:           8
        .value_kind:     global_buffer
      - .offset:         40
        .size:           8
        .value_kind:     by_value
      - .address_space:  global
        .offset:         48
        .size:           8
        .value_kind:     global_buffer
      - .address_space:  global
        .offset:         56
        .size:           8
        .value_kind:     global_buffer
      - .address_space:  global
        .offset:         64
        .size:           8
        .value_kind:     global_buffer
      - .address_space:  global
        .offset:         72
        .size:           8
        .value_kind:     global_buffer
      - .offset:         80
        .size:           4
        .value_kind:     by_value
      - .address_space:  global
        .offset:         88
        .size:           8
        .value_kind:     global_buffer
      - .address_space:  global
        .offset:         96
        .size:           8
        .value_kind:     global_buffer
    .group_segment_fixed_size: 19968
    .kernarg_segment_align: 8
    .kernarg_segment_size: 104
    .language:       OpenCL C
    .language_version:
      - 2
      - 0
    .max_flat_workgroup_size: 52
    .name:           bluestein_single_fwd_len1248_dim1_dp_op_CI_CI
    .private_segment_fixed_size: 0
    .sgpr_count:     56
    .sgpr_spill_count: 0
    .symbol:         bluestein_single_fwd_len1248_dim1_dp_op_CI_CI.kd
    .uniform_work_group_size: 1
    .uses_dynamic_stack: false
    .vgpr_count:     507
    .vgpr_spill_count: 0
    .wavefront_size: 64
amdhsa.target:   amdgcn-amd-amdhsa--gfx950
amdhsa.version:
  - 1
  - 2
...

	.end_amdgpu_metadata
